;; amdgpu-corpus repo=ROCm/rocFFT kind=compiled arch=gfx1030 opt=O3
	.text
	.amdgcn_target "amdgcn-amd-amdhsa--gfx1030"
	.amdhsa_code_object_version 6
	.protected	bluestein_single_back_len1936_dim1_dp_op_CI_CI ; -- Begin function bluestein_single_back_len1936_dim1_dp_op_CI_CI
	.globl	bluestein_single_back_len1936_dim1_dp_op_CI_CI
	.p2align	8
	.type	bluestein_single_back_len1936_dim1_dp_op_CI_CI,@function
bluestein_single_back_len1936_dim1_dp_op_CI_CI: ; @bluestein_single_back_len1936_dim1_dp_op_CI_CI
; %bb.0:
	s_load_dwordx4 s[8:11], s[4:5], 0x28
	v_mul_u32_u24_e32 v1, 0x175, v0
	v_mov_b32_e32 v185, 0
	s_mov_b32 s0, exec_lo
	v_lshrrev_b32_e32 v1, 16, v1
	v_add_nc_u32_e32 v184, s6, v1
	s_waitcnt lgkmcnt(0)
	v_cmpx_gt_u64_e64 s[8:9], v[184:185]
	s_cbranch_execz .LBB0_31
; %bb.1:
	s_clause 0x1
	s_load_dwordx4 s[0:3], s[4:5], 0x18
	s_load_dwordx2 s[6:7], s[4:5], 0x0
	v_mul_lo_u16 v1, 0xb0, v1
	v_sub_nc_u16 v122, v0, v1
	v_and_b32_e32 v188, 0xffff, v122
	v_lshlrev_b32_e32 v185, 4, v188
	s_waitcnt lgkmcnt(0)
	s_load_dwordx4 s[12:15], s[0:1], 0x0
	v_add_co_u32 v186, s0, s6, v185
	v_add_co_ci_u32_e64 v187, null, s7, 0, s0
	global_load_dwordx4 v[0:3], v185, s[6:7]
	v_add_co_u32 v4, vcc_lo, 0x3800, v186
	v_add_co_ci_u32_e32 v5, vcc_lo, 0, v187, vcc_lo
	v_add_co_u32 v6, vcc_lo, 0x800, v186
	v_add_co_ci_u32_e32 v7, vcc_lo, 0, v187, vcc_lo
	v_add_co_u32 v8, vcc_lo, 0x4000, v186
	v_add_co_ci_u32_e32 v9, vcc_lo, 0, v187, vcc_lo
	v_add_co_u32 v10, vcc_lo, 0x1000, v186
	s_waitcnt lgkmcnt(0)
	v_mad_u64_u32 v[16:17], null, s14, v184, 0
	v_mad_u64_u32 v[18:19], null, s12, v188, 0
	v_add_co_ci_u32_e32 v11, vcc_lo, 0, v187, vcc_lo
	v_add_co_u32 v28, vcc_lo, 0x5000, v186
	v_mov_b32_e32 v12, v17
	v_add_co_ci_u32_e32 v29, vcc_lo, 0, v187, vcc_lo
	v_mov_b32_e32 v13, v19
	v_add_co_u32 v30, vcc_lo, 0x2000, v186
	v_add_co_ci_u32_e32 v31, vcc_lo, 0, v187, vcc_lo
	v_mad_u64_u32 v[19:20], null, s15, v184, v[12:13]
	s_clause 0x1
	global_load_dwordx4 v[24:27], v[4:5], off offset:1152
	global_load_dwordx4 v[20:23], v[6:7], off offset:768
	v_mad_u64_u32 v[4:5], null, s13, v188, v[13:14]
	v_add_co_u32 v32, vcc_lo, 0x5800, v186
	v_add_co_ci_u32_e32 v33, vcc_lo, 0, v187, vcc_lo
	v_mov_b32_e32 v17, v19
	s_mul_i32 s1, s13, 0x3c8
	v_mov_b32_e32 v19, v4
	s_mul_hi_u32 s7, s12, 0x3c8
	s_mul_i32 s0, s12, 0x3c8
	v_lshlrev_b64 v[4:5], 4, v[16:17]
	s_mul_hi_u32 s9, s12, 0xfffffce8
	v_lshlrev_b64 v[6:7], 4, v[18:19]
	s_add_i32 s1, s7, s1
	s_mul_i32 s8, s13, 0xfffffce8
	s_mul_i32 s6, s12, 0xfffffce8
	v_add_co_u32 v4, vcc_lo, s10, v4
	v_add_co_ci_u32_e32 v5, vcc_lo, s11, v5, vcc_lo
	s_sub_i32 s7, s9, s12
	v_add_co_u32 v34, vcc_lo, v4, v6
	v_add_co_ci_u32_e32 v35, vcc_lo, v5, v7, vcc_lo
	s_lshl_b64 s[12:13], s[0:1], 4
	s_add_i32 s7, s7, s8
	v_add_co_u32 v36, vcc_lo, v34, s12
	v_add_co_ci_u32_e32 v37, vcc_lo, s13, v35, vcc_lo
	s_lshl_b64 s[0:1], s[6:7], 4
	s_clause 0x1
	global_load_dwordx4 v[12:15], v[8:9], off offset:1920
	global_load_dwordx4 v[16:19], v[10:11], off offset:1536
	v_add_co_u32 v38, vcc_lo, v36, s0
	v_add_co_ci_u32_e32 v39, vcc_lo, s1, v37, vcc_lo
	s_clause 0x1
	global_load_dwordx4 v[8:11], v[28:29], off offset:640
	global_load_dwordx4 v[4:7], v[30:31], off offset:256
	v_add_co_u32 v40, vcc_lo, v38, s12
	v_add_co_ci_u32_e32 v41, vcc_lo, s13, v39, vcc_lo
	s_clause 0x1
	global_load_dwordx4 v[42:45], v[34:35], off
	global_load_dwordx4 v[46:49], v[36:37], off
	v_add_co_u32 v28, vcc_lo, v40, s0
	v_add_co_ci_u32_e32 v29, vcc_lo, s1, v41, vcc_lo
	global_load_dwordx4 v[50:53], v[38:39], off
	v_add_co_u32 v30, vcc_lo, v28, s12
	v_add_co_ci_u32_e32 v31, vcc_lo, s13, v29, vcc_lo
	v_add_co_u32 v34, vcc_lo, v30, s0
	v_add_co_ci_u32_e32 v35, vcc_lo, s1, v31, vcc_lo
	;; [unrolled: 2-line block ×3, first 2 shown]
	s_clause 0x1
	global_load_dwordx4 v[54:57], v[40:41], off
	global_load_dwordx4 v[58:61], v[28:29], off
	;; [unrolled: 1-line block ×5, first 2 shown]
	v_add_co_u32 v34, vcc_lo, v36, s0
	v_add_co_ci_u32_e32 v35, vcc_lo, s1, v37, vcc_lo
	v_add_co_u32 v36, vcc_lo, 0x2800, v186
	v_add_co_ci_u32_e32 v37, vcc_lo, 0, v187, vcc_lo
	;; [unrolled: 2-line block ×4, first 2 shown]
	global_load_dwordx4 v[28:31], v[32:33], off offset:1408
	global_load_dwordx4 v[74:77], v[34:35], off
	s_clause 0x1
	global_load_dwordx4 v[32:35], v[36:37], off offset:1024
	global_load_dwordx4 v[36:39], v[38:39], off offset:128
	global_load_dwordx4 v[78:81], v[40:41], off
	s_load_dwordx2 s[6:7], s[4:5], 0x38
	s_load_dwordx4 s[8:11], s[2:3], 0x0
	v_cmp_gt_u16_e32 vcc_lo, 0x58, v122
	s_waitcnt vmcnt(12)
	v_mul_f64 v[82:83], v[44:45], v[2:3]
	v_mul_f64 v[84:85], v[42:43], v[2:3]
	s_waitcnt vmcnt(11)
	v_mul_f64 v[86:87], v[48:49], v[26:27]
	v_mul_f64 v[88:89], v[46:47], v[26:27]
	;; [unrolled: 3-line block ×4, first 2 shown]
	s_waitcnt vmcnt(8)
	v_mul_f64 v[98:99], v[60:61], v[18:19]
	s_waitcnt vmcnt(6)
	v_mul_f64 v[106:107], v[68:69], v[6:7]
	v_mul_f64 v[108:109], v[66:67], v[6:7]
	v_mul_f64 v[100:101], v[58:59], v[18:19]
	v_mul_f64 v[102:103], v[64:65], v[10:11]
	v_mul_f64 v[104:105], v[62:63], v[10:11]
	v_fma_f64 v[42:43], v[42:43], v[0:1], v[82:83]
	v_fma_f64 v[44:45], v[44:45], v[0:1], -v[84:85]
	v_fma_f64 v[46:47], v[46:47], v[24:25], v[86:87]
	v_fma_f64 v[48:49], v[48:49], v[24:25], -v[88:89]
	v_fma_f64 v[50:51], v[50:51], v[20:21], v[90:91]
	v_fma_f64 v[52:53], v[52:53], v[20:21], -v[92:93]
	s_waitcnt vmcnt(4)
	v_mul_f64 v[110:111], v[72:73], v[30:31]
	v_mul_f64 v[112:113], v[70:71], v[30:31]
	s_waitcnt vmcnt(2)
	v_mul_f64 v[114:115], v[76:77], v[34:35]
	v_mul_f64 v[116:117], v[74:75], v[34:35]
	;; [unrolled: 3-line block ×3, first 2 shown]
	v_fma_f64 v[54:55], v[54:55], v[12:13], v[94:95]
	v_fma_f64 v[56:57], v[56:57], v[12:13], -v[96:97]
	v_fma_f64 v[66:67], v[66:67], v[4:5], v[106:107]
	v_fma_f64 v[68:69], v[68:69], v[4:5], -v[108:109]
	;; [unrolled: 2-line block ×4, first 2 shown]
	ds_write_b128 v185, v[42:45]
	ds_write_b128 v185, v[46:49] offset:15488
	ds_write_b128 v185, v[50:53] offset:2816
	;; [unrolled: 1-line block ×5, first 2 shown]
	v_fma_f64 v[70:71], v[70:71], v[28:29], v[110:111]
	v_fma_f64 v[72:73], v[72:73], v[28:29], -v[112:113]
	v_fma_f64 v[74:75], v[74:75], v[32:33], v[114:115]
	v_fma_f64 v[76:77], v[76:77], v[32:33], -v[116:117]
	;; [unrolled: 2-line block ×3, first 2 shown]
	ds_write_b128 v185, v[66:69] offset:8448
	ds_write_b128 v185, v[70:73] offset:23936
	ds_write_b128 v185, v[74:77] offset:11264
	ds_write_b128 v185, v[78:81] offset:26752
	s_and_saveexec_b32 s2, vcc_lo
	s_cbranch_execz .LBB0_3
; %bb.2:
	v_add_co_u32 v40, s0, v40, s0
	v_add_co_ci_u32_e64 v41, s0, s1, v41, s0
	v_add_co_u32 v44, s0, 0x3000, v186
	v_add_co_ci_u32_e64 v45, s0, 0, v187, s0
	;; [unrolled: 2-line block ×4, first 2 shown]
	global_load_dwordx4 v[40:43], v[40:41], off
	s_clause 0x1
	global_load_dwordx4 v[44:47], v[44:45], off offset:1792
	global_load_dwordx4 v[48:51], v[48:49], off offset:896
	global_load_dwordx4 v[52:55], v[52:53], off
	s_waitcnt vmcnt(2)
	v_mul_f64 v[56:57], v[42:43], v[46:47]
	v_mul_f64 v[46:47], v[40:41], v[46:47]
	s_waitcnt vmcnt(0)
	v_mul_f64 v[58:59], v[54:55], v[50:51]
	v_mul_f64 v[50:51], v[52:53], v[50:51]
	v_fma_f64 v[40:41], v[40:41], v[44:45], v[56:57]
	v_fma_f64 v[42:43], v[42:43], v[44:45], -v[46:47]
	v_fma_f64 v[44:45], v[52:53], v[48:49], v[58:59]
	v_fma_f64 v[46:47], v[54:55], v[48:49], -v[50:51]
	ds_write_b128 v185, v[40:43] offset:14080
	ds_write_b128 v185, v[44:47] offset:29568
.LBB0_3:
	s_or_b32 exec_lo, exec_lo, s2
	s_waitcnt lgkmcnt(0)
	s_barrier
	buffer_gl0_inv
	ds_read_b128 v[48:51], v185
	ds_read_b128 v[52:55], v185 offset:2816
	ds_read_b128 v[80:83], v185 offset:18304
	;; [unrolled: 1-line block ×9, first 2 shown]
                                        ; implicit-def: $vgpr68_vgpr69
                                        ; implicit-def: $vgpr60_vgpr61
	s_and_saveexec_b32 s0, vcc_lo
	s_cbranch_execz .LBB0_5
; %bb.4:
	ds_read_b128 v[60:63], v185 offset:14080
	ds_read_b128 v[68:71], v185 offset:29568
.LBB0_5:
	s_or_b32 exec_lo, exec_lo, s0
	s_waitcnt lgkmcnt(3)
	v_add_f64 v[84:85], v[48:49], -v[84:85]
	v_add_f64 v[86:87], v[50:51], -v[86:87]
	;; [unrolled: 1-line block ×6, first 2 shown]
	s_waitcnt lgkmcnt(1)
	v_add_f64 v[72:73], v[40:41], -v[72:73]
	v_add_f64 v[74:75], v[42:43], -v[74:75]
	s_waitcnt lgkmcnt(0)
	v_add_f64 v[88:89], v[44:45], -v[56:57]
	v_add_f64 v[90:91], v[46:47], -v[58:59]
	;; [unrolled: 1-line block ×4, first 2 shown]
	s_load_dwordx2 s[18:19], s[4:5], 0x8
	v_lshlrev_b32_e32 v92, 1, v188
	v_add_co_u32 v105, null, 0xb0, v188
	v_add_co_u32 v104, null, 0x160, v188
	;; [unrolled: 1-line block ×3, first 2 shown]
	v_lshlrev_b32_e32 v191, 5, v188
	v_add_nc_u32_e32 v96, 0x420, v92
	v_fma_f64 v[48:49], v[48:49], 2.0, -v[84:85]
	v_fma_f64 v[50:51], v[50:51], 2.0, -v[86:87]
	;; [unrolled: 1-line block ×12, first 2 shown]
	v_add_nc_u32_e32 v97, 0x580, v92
	v_lshlrev_b32_e32 v192, 5, v105
	s_waitcnt lgkmcnt(0)
	s_barrier
	buffer_gl0_inv
	v_lshlrev_b32_e32 v95, 1, v105
	v_lshlrev_b32_e32 v94, 1, v104
	v_lshlrev_b32_e32 v193, 5, v104
	v_lshlrev_b32_e32 v196, 4, v96
	ds_write_b128 v191, v[84:87] offset:16
	ds_write_b128 v191, v[48:51]
	ds_write_b128 v192, v[52:55]
	ds_write_b128 v192, v[80:83] offset:16
	v_lshlrev_b32_e32 v48, 4, v92
	v_lshlrev_b32_e32 v195, 4, v97
	;; [unrolled: 1-line block ×3, first 2 shown]
	ds_write_b128 v193, v[64:67]
	ds_write_b128 v193, v[76:79] offset:16
	ds_write_b128 v48, v[68:71] offset:16896
	;; [unrolled: 1-line block ×5, first 2 shown]
	s_and_saveexec_b32 s0, vcc_lo
	s_cbranch_execz .LBB0_7
; %bb.6:
	ds_write_b128 v194, v[40:43]
	ds_write_b128 v194, v[56:59] offset:16
.LBB0_7:
	s_or_b32 exec_lo, exec_lo, s0
	s_waitcnt lgkmcnt(0)
	s_barrier
	buffer_gl0_inv
	ds_read_b128 v[44:47], v185
	ds_read_b128 v[48:51], v185 offset:2816
	ds_read_b128 v[60:63], v185 offset:18304
	ds_read_b128 v[76:79], v185 offset:21120
	ds_read_b128 v[64:67], v185 offset:5632
	ds_read_b128 v[52:55], v185 offset:8448
	ds_read_b128 v[88:91], v185 offset:15488
	ds_read_b128 v[72:75], v185 offset:11264
	ds_read_b128 v[84:87], v185 offset:23936
	ds_read_b128 v[80:83], v185 offset:26752
	s_and_saveexec_b32 s0, vcc_lo
	s_cbranch_execz .LBB0_9
; %bb.8:
	ds_read_b128 v[40:43], v185 offset:14080
	ds_read_b128 v[56:59], v185 offset:29568
.LBB0_9:
	s_or_b32 exec_lo, exec_lo, s0
	v_and_b32_e32 v190, 1, v188
	v_lshlrev_b32_e32 v197, 1, v93
	v_lshlrev_b32_e32 v68, 4, v190
	v_and_or_b32 v92, 0x1fc, v92, v190
	v_and_or_b32 v93, 0x3fc, v95, v190
	global_load_dwordx4 v[68:71], v68, s[18:19]
	v_lshlrev_b32_e32 v203, 4, v92
	v_lshlrev_b32_e32 v202, 4, v93
	s_waitcnt vmcnt(0) lgkmcnt(0)
	s_barrier
	buffer_gl0_inv
	v_mul_f64 v[98:99], v[90:91], v[70:71]
	v_mul_f64 v[100:101], v[88:89], v[70:71]
	;; [unrolled: 1-line block ×12, first 2 shown]
	v_fma_f64 v[88:89], v[88:89], v[68:69], -v[98:99]
	v_fma_f64 v[90:91], v[90:91], v[68:69], v[100:101]
	v_fma_f64 v[60:61], v[60:61], v[68:69], -v[102:103]
	v_fma_f64 v[62:63], v[62:63], v[68:69], v[106:107]
	;; [unrolled: 2-line block ×6, first 2 shown]
	v_add_f64 v[76:77], v[44:45], -v[88:89]
	v_add_f64 v[78:79], v[46:47], -v[90:91]
	;; [unrolled: 1-line block ×12, first 2 shown]
	v_fma_f64 v[44:45], v[44:45], 2.0, -v[76:77]
	v_fma_f64 v[46:47], v[46:47], 2.0, -v[78:79]
	;; [unrolled: 1-line block ×12, first 2 shown]
	v_and_or_b32 v40, 0x7fc, v94, v190
	v_and_or_b32 v41, 0x7fc, v96, v190
	;; [unrolled: 1-line block ×3, first 2 shown]
	v_lshlrev_b32_e32 v201, 4, v40
	v_lshlrev_b32_e32 v199, 4, v41
	;; [unrolled: 1-line block ×3, first 2 shown]
	ds_write_b128 v203, v[76:79] offset:32
	ds_write_b128 v203, v[44:47]
	ds_write_b128 v202, v[48:51]
	ds_write_b128 v202, v[80:83] offset:32
	ds_write_b128 v201, v[98:101]
	ds_write_b128 v201, v[84:87] offset:32
	;; [unrolled: 2-line block ×4, first 2 shown]
	s_and_saveexec_b32 s0, vcc_lo
	s_cbranch_execz .LBB0_11
; %bb.10:
	v_and_or_b32 v40, 0x7fc, v197, v190
	v_lshlrev_b32_e32 v40, 4, v40
	ds_write_b128 v40, v[64:67]
	ds_write_b128 v40, v[60:63] offset:32
.LBB0_11:
	s_or_b32 exec_lo, exec_lo, s0
	s_waitcnt lgkmcnt(0)
	s_barrier
	buffer_gl0_inv
	ds_read_b128 v[72:75], v185
	ds_read_b128 v[76:79], v185 offset:2816
	ds_read_b128 v[92:95], v185 offset:7744
	;; [unrolled: 1-line block ×7, first 2 shown]
	v_cmp_gt_u16_e64 s0, 0x84, v188
	s_and_saveexec_b32 s1, s0
	s_cbranch_execz .LBB0_13
; %bb.12:
	ds_read_b128 v[52:55], v185 offset:5632
	ds_read_b128 v[56:59], v185 offset:13376
	;; [unrolled: 1-line block ×4, first 2 shown]
.LBB0_13:
	s_or_b32 exec_lo, exec_lo, s1
	v_and_b32_e32 v189, 3, v188
	v_lshlrev_b32_e32 v105, 2, v105
	v_lshlrev_b32_e32 v200, 2, v104
	v_mad_u64_u32 v[40:41], null, v189, 48, s[18:19]
	v_and_or_b32 v105, 0x7f0, v105, v189
	s_clause 0x2
	global_load_dwordx4 v[48:51], v[40:41], off offset:32
	global_load_dwordx4 v[44:47], v[40:41], off offset:48
	;; [unrolled: 1-line block ×3, first 2 shown]
	v_lshlrev_b32_e32 v204, 4, v105
	s_waitcnt vmcnt(0) lgkmcnt(0)
	s_barrier
	buffer_gl0_inv
	v_mul_f64 v[120:121], v[80:81], v[50:51]
	v_mul_f64 v[122:123], v[86:87], v[46:47]
	;; [unrolled: 1-line block ×12, first 2 shown]
	v_fma_f64 v[82:83], v[82:83], v[48:49], v[120:121]
	v_fma_f64 v[84:85], v[84:85], v[44:45], -v[122:123]
	v_fma_f64 v[86:87], v[86:87], v[44:45], v[124:125]
	v_fma_f64 v[90:91], v[90:91], v[40:41], v[128:129]
	v_fma_f64 v[92:93], v[92:93], v[48:49], -v[106:107]
	v_fma_f64 v[94:95], v[94:95], v[48:49], v[108:109]
	v_fma_f64 v[96:97], v[96:97], v[44:45], -v[110:111]
	;; [unrolled: 2-line block ×4, first 2 shown]
	v_fma_f64 v[88:89], v[88:89], v[40:41], -v[126:127]
	v_mul_f64 v[106:107], v[58:59], v[50:51]
	v_mul_f64 v[108:109], v[66:67], v[46:47]
	;; [unrolled: 1-line block ×4, first 2 shown]
	v_add_f64 v[112:113], v[76:77], -v[84:85]
	v_add_f64 v[114:115], v[78:79], -v[86:87]
	;; [unrolled: 1-line block ×3, first 2 shown]
	v_mul_f64 v[86:87], v[56:57], v[50:51]
	v_mul_f64 v[90:91], v[60:61], v[42:43]
	v_add_f64 v[96:97], v[72:73], -v[96:97]
	v_add_f64 v[98:99], v[74:75], -v[98:99]
	;; [unrolled: 1-line block ×5, first 2 shown]
	v_fma_f64 v[56:57], v[56:57], v[48:49], -v[106:107]
	v_fma_f64 v[64:65], v[64:65], v[44:45], -v[108:109]
	v_fma_f64 v[66:67], v[66:67], v[44:45], v[110:111]
	v_fma_f64 v[116:117], v[60:61], v[40:41], -v[116:117]
	v_fma_f64 v[110:111], v[76:77], 2.0, -v[112:113]
	v_fma_f64 v[118:119], v[78:79], 2.0, -v[114:115]
	;; [unrolled: 1-line block ×3, first 2 shown]
	v_fma_f64 v[58:59], v[58:59], v[48:49], v[86:87]
	v_fma_f64 v[90:91], v[62:63], v[40:41], v[90:91]
	v_fma_f64 v[106:107], v[72:73], 2.0, -v[96:97]
	v_fma_f64 v[108:109], v[74:75], 2.0, -v[98:99]
	;; [unrolled: 1-line block ×4, first 2 shown]
	v_add_f64 v[72:73], v[96:97], -v[102:103]
	v_fma_f64 v[78:79], v[80:81], 2.0, -v[88:89]
	v_add_f64 v[74:75], v[98:99], v[100:101]
	v_add_f64 v[60:61], v[52:53], -v[64:65]
	v_add_f64 v[62:63], v[54:55], -v[66:67]
	;; [unrolled: 1-line block ×4, first 2 shown]
	v_lshlrev_b32_e32 v116, 2, v188
	v_add_f64 v[86:87], v[118:119], -v[120:121]
	v_add_f64 v[66:67], v[58:59], -v[90:91]
	;; [unrolled: 1-line block ×5, first 2 shown]
	v_add_f64 v[78:79], v[114:115], v[88:89]
	v_fma_f64 v[88:89], v[96:97], 2.0, -v[72:73]
	v_fma_f64 v[90:91], v[98:99], 2.0, -v[74:75]
	v_add_f64 v[98:99], v[62:63], v[64:65]
	v_fma_f64 v[92:93], v[112:113], 2.0, -v[76:77]
	v_add_f64 v[96:97], v[60:61], -v[66:67]
	v_fma_f64 v[100:101], v[106:107], 2.0, -v[80:81]
	v_fma_f64 v[102:103], v[108:109], 2.0, -v[82:83]
	;; [unrolled: 1-line block ×5, first 2 shown]
	v_and_or_b32 v110, 0x3f0, v116, v189
	v_lshlrev_b32_e32 v205, 4, v110
	ds_write_b128 v205, v[72:75] offset:192
	ds_write_b128 v205, v[88:91] offset:64
	;; [unrolled: 1-line block ×3, first 2 shown]
	ds_write_b128 v205, v[100:103]
	ds_write_b128 v204, v[106:109]
	ds_write_b128 v204, v[92:95] offset:64
	ds_write_b128 v204, v[84:87] offset:128
	;; [unrolled: 1-line block ×3, first 2 shown]
	s_and_saveexec_b32 s1, s0
	s_cbranch_execz .LBB0_15
; %bb.14:
	v_fma_f64 v[72:73], v[54:55], 2.0, -v[62:63]
	v_fma_f64 v[54:55], v[58:59], 2.0, -v[66:67]
	v_fma_f64 v[66:67], v[52:53], 2.0, -v[60:61]
	v_fma_f64 v[52:53], v[56:57], 2.0, -v[64:65]
	v_fma_f64 v[58:59], v[62:63], 2.0, -v[98:99]
	v_fma_f64 v[56:57], v[60:61], 2.0, -v[96:97]
	v_and_or_b32 v64, 0xff0, v200, v189
	v_lshlrev_b32_e32 v64, 4, v64
	v_add_f64 v[54:55], v[72:73], -v[54:55]
	v_add_f64 v[52:53], v[66:67], -v[52:53]
	v_fma_f64 v[62:63], v[72:73], 2.0, -v[54:55]
	v_fma_f64 v[60:61], v[66:67], 2.0, -v[52:53]
	ds_write_b128 v64, v[56:59] offset:64
	ds_write_b128 v64, v[52:55] offset:128
	ds_write_b128 v64, v[60:63]
	ds_write_b128 v64, v[96:99] offset:192
.LBB0_15:
	s_or_b32 exec_lo, exec_lo, s1
	v_and_b32_e32 v136, 15, v188
	s_waitcnt lgkmcnt(0)
	s_barrier
	buffer_gl0_inv
	ds_read_b128 v[104:107], v185
	ds_read_b128 v[64:67], v185 offset:2816
	ds_read_b128 v[72:75], v185 offset:5632
	;; [unrolled: 1-line block ×10, first 2 shown]
	v_mad_u64_u32 v[149:150], null, 0xa0, v136, s[18:19]
	s_mov_b32 s22, 0xf8bb580b
	s_mov_b32 s36, 0x8eee2c13
	;; [unrolled: 1-line block ×6, first 2 shown]
	s_clause 0x3
	global_load_dwordx4 v[52:55], v[149:150], off offset:272
	global_load_dwordx4 v[56:59], v[149:150], off offset:256
	global_load_dwordx4 v[60:63], v[149:150], off offset:240
	global_load_dwordx4 v[80:83], v[149:150], off offset:224
	s_mov_b32 s37, 0xbfed1bb4
	s_mov_b32 s5, 0xbfefac9e
	;; [unrolled: 1-line block ×22, first 2 shown]
	v_mad_u64_u32 v[211:212], null, 0xa0, v188, s[18:19]
	s_waitcnt vmcnt(0) lgkmcnt(9)
	v_mul_f64 v[108:109], v[66:67], v[82:83]
	v_fma_f64 v[151:152], v[64:65], v[80:81], -v[108:109]
	v_mul_f64 v[64:65], v[64:65], v[82:83]
	v_fma_f64 v[153:154], v[66:67], v[80:81], v[64:65]
	s_waitcnt lgkmcnt(8)
	v_mul_f64 v[64:65], v[74:75], v[62:63]
	v_fma_f64 v[132:133], v[72:73], v[60:61], -v[64:65]
	v_mul_f64 v[64:65], v[72:73], v[62:63]
	v_fma_f64 v[130:131], v[74:75], v[60:61], v[64:65]
	s_waitcnt lgkmcnt(7)
	;; [unrolled: 5-line block ×3, first 2 shown]
	v_mul_f64 v[64:65], v[86:87], v[54:55]
	v_fma_f64 v[120:121], v[84:85], v[52:53], -v[64:65]
	v_mul_f64 v[64:65], v[84:85], v[54:55]
	v_fma_f64 v[112:113], v[86:87], v[52:53], v[64:65]
	s_clause 0x3
	global_load_dwordx4 v[76:79], v[149:150], off offset:336
	global_load_dwordx4 v[72:75], v[149:150], off offset:320
	;; [unrolled: 1-line block ×4, first 2 shown]
	s_waitcnt vmcnt(0) lgkmcnt(5)
	v_mul_f64 v[108:109], v[90:91], v[86:87]
	v_fma_f64 v[114:115], v[88:89], v[84:85], -v[108:109]
	v_mul_f64 v[88:89], v[88:89], v[86:87]
	v_fma_f64 v[108:109], v[90:91], v[84:85], v[88:89]
	s_waitcnt lgkmcnt(4)
	v_mul_f64 v[88:89], v[94:95], v[66:67]
	v_fma_f64 v[116:117], v[92:93], v[64:65], -v[88:89]
	v_mul_f64 v[88:89], v[92:93], v[66:67]
	v_fma_f64 v[110:111], v[94:95], v[64:65], v[88:89]
	s_waitcnt lgkmcnt(3)
	;; [unrolled: 5-line block ×3, first 2 shown]
	v_mul_f64 v[88:89], v[139:140], v[78:79]
	v_add_f64 v[102:103], v[106:107], v[153:154]
	v_fma_f64 v[134:135], v[137:138], v[76:77], -v[88:89]
	v_mul_f64 v[88:89], v[137:138], v[78:79]
	v_add_f64 v[102:103], v[102:103], v[130:131]
	v_fma_f64 v[126:127], v[139:140], v[76:77], v[88:89]
	s_clause 0x1
	global_load_dwordx4 v[88:91], v[149:150], off offset:368
	global_load_dwordx4 v[92:95], v[149:150], off offset:352
	v_add_f64 v[102:103], v[102:103], v[122:123]
	s_waitcnt vmcnt(0) lgkmcnt(0)
	s_barrier
	buffer_gl0_inv
	v_add_f64 v[102:103], v[102:103], v[112:113]
	v_add_f64 v[102:103], v[102:103], v[108:109]
	;; [unrolled: 1-line block ×5, first 2 shown]
	v_mul_f64 v[100:101], v[143:144], v[94:95]
	v_fma_f64 v[137:138], v[141:142], v[92:93], -v[100:101]
	v_mul_f64 v[100:101], v[141:142], v[94:95]
	v_fma_f64 v[139:140], v[143:144], v[92:93], v[100:101]
	v_mul_f64 v[100:101], v[147:148], v[90:91]
	v_add_f64 v[102:103], v[102:103], v[139:140]
	v_fma_f64 v[141:142], v[145:146], v[88:89], -v[100:101]
	v_mul_f64 v[100:101], v[145:146], v[90:91]
	v_add_f64 v[145:146], v[151:152], v[141:142]
	v_fma_f64 v[143:144], v[147:148], v[88:89], v[100:101]
	v_add_f64 v[100:101], v[104:105], v[151:152]
	v_add_f64 v[102:103], v[102:103], v[143:144]
	;; [unrolled: 1-line block ×4, first 2 shown]
	v_add_f64 v[143:144], v[153:154], -v[143:144]
	v_add_f64 v[100:101], v[100:101], v[128:129]
	v_mul_f64 v[149:150], v[143:144], s[22:23]
	v_mul_f64 v[157:158], v[143:144], s[36:37]
	;; [unrolled: 1-line block ×5, first 2 shown]
	v_add_f64 v[100:101], v[100:101], v[120:121]
	v_fma_f64 v[159:160], v[145:146], s[12:13], -v[157:158]
	v_fma_f64 v[157:158], v[145:146], s[12:13], v[157:158]
	v_fma_f64 v[167:168], v[145:146], s[2:3], -v[165:166]
	v_fma_f64 v[165:166], v[145:146], s[2:3], v[165:166]
	;; [unrolled: 2-line block ×4, first 2 shown]
	v_add_f64 v[100:101], v[100:101], v[114:115]
	v_add_f64 v[159:160], v[104:105], v[159:160]
	;; [unrolled: 1-line block ×13, first 2 shown]
	v_add_f64 v[141:142], v[151:152], -v[141:142]
	v_fma_f64 v[151:152], v[145:146], s[14:15], -v[149:150]
	v_fma_f64 v[149:150], v[145:146], s[14:15], v[149:150]
	v_mul_f64 v[153:154], v[141:142], s[22:23]
	v_mul_f64 v[161:162], v[141:142], s[36:37]
	;; [unrolled: 1-line block ×5, first 2 shown]
	v_add_f64 v[151:152], v[104:105], v[151:152]
	v_add_f64 v[149:150], v[104:105], v[149:150]
	v_add_f64 v[104:105], v[104:105], v[143:144]
	v_add_f64 v[143:144], v[130:131], v[139:140]
	v_add_f64 v[130:131], v[130:131], -v[139:140]
	v_fma_f64 v[155:156], v[147:148], s[14:15], v[153:154]
	v_fma_f64 v[153:154], v[147:148], s[14:15], -v[153:154]
	v_fma_f64 v[163:164], v[147:148], s[12:13], v[161:162]
	v_fma_f64 v[161:162], v[147:148], s[12:13], -v[161:162]
	;; [unrolled: 2-line block ×5, first 2 shown]
	v_add_f64 v[155:156], v[106:107], v[155:156]
	v_add_f64 v[153:154], v[106:107], v[153:154]
	;; [unrolled: 1-line block ×11, first 2 shown]
	v_add_f64 v[132:133], v[132:133], -v[137:138]
	v_mul_f64 v[137:138], v[130:131], s[36:37]
	v_mul_f64 v[145:146], v[132:133], s[36:37]
	v_fma_f64 v[139:140], v[141:142], s[12:13], -v[137:138]
	v_fma_f64 v[137:138], v[141:142], s[12:13], v[137:138]
	v_fma_f64 v[147:148], v[143:144], s[12:13], v[145:146]
	v_add_f64 v[139:140], v[139:140], v[151:152]
	v_add_f64 v[137:138], v[137:138], v[149:150]
	v_mul_f64 v[149:150], v[130:131], s[20:21]
	v_fma_f64 v[145:146], v[143:144], s[12:13], -v[145:146]
	v_add_f64 v[147:148], v[147:148], v[155:156]
	v_fma_f64 v[151:152], v[141:142], s[16:17], -v[149:150]
	v_fma_f64 v[149:150], v[141:142], s[16:17], v[149:150]
	v_add_f64 v[145:146], v[145:146], v[153:154]
	v_mul_f64 v[153:154], v[132:133], s[20:21]
	v_add_f64 v[151:152], v[151:152], v[159:160]
	v_add_f64 v[149:150], v[149:150], v[157:158]
	v_mul_f64 v[157:158], v[130:131], s[38:39]
	v_fma_f64 v[155:156], v[143:144], s[16:17], v[153:154]
	v_fma_f64 v[153:154], v[143:144], s[16:17], -v[153:154]
	v_fma_f64 v[159:160], v[141:142], s[26:27], -v[157:158]
	v_fma_f64 v[157:158], v[141:142], s[26:27], v[157:158]
	v_add_f64 v[153:154], v[153:154], v[161:162]
	v_mul_f64 v[161:162], v[132:133], s[38:39]
	v_add_f64 v[155:156], v[155:156], v[163:164]
	v_add_f64 v[159:160], v[159:160], v[167:168]
	;; [unrolled: 1-line block ×3, first 2 shown]
	v_mul_f64 v[165:166], v[130:131], s[34:35]
	v_fma_f64 v[163:164], v[143:144], s[26:27], v[161:162]
	v_fma_f64 v[161:162], v[143:144], s[26:27], -v[161:162]
	v_mul_f64 v[130:131], v[130:131], s[28:29]
	v_fma_f64 v[167:168], v[141:142], s[2:3], -v[165:166]
	v_fma_f64 v[165:166], v[141:142], s[2:3], v[165:166]
	v_add_f64 v[161:162], v[161:162], v[169:170]
	v_mul_f64 v[169:170], v[132:133], s[34:35]
	v_mul_f64 v[132:133], v[132:133], s[28:29]
	v_add_f64 v[163:164], v[163:164], v[171:172]
	v_add_f64 v[167:168], v[167:168], v[175:176]
	;; [unrolled: 1-line block ×3, first 2 shown]
	v_fma_f64 v[173:174], v[141:142], s[14:15], -v[130:131]
	v_fma_f64 v[130:131], v[141:142], s[14:15], v[130:131]
	v_fma_f64 v[175:176], v[143:144], s[14:15], v[132:133]
	;; [unrolled: 1-line block ×3, first 2 shown]
	v_fma_f64 v[169:170], v[143:144], s[2:3], -v[169:170]
	v_add_f64 v[173:174], v[173:174], v[181:182]
	v_add_f64 v[104:105], v[130:131], v[104:105]
	v_fma_f64 v[130:131], v[143:144], s[14:15], -v[132:133]
	v_add_f64 v[132:133], v[122:123], v[126:127]
	v_add_f64 v[122:123], v[122:123], -v[126:127]
	v_add_f64 v[169:170], v[169:170], v[177:178]
	v_add_f64 v[171:172], v[171:172], v[179:180]
	;; [unrolled: 1-line block ×5, first 2 shown]
	v_mul_f64 v[126:127], v[122:123], s[4:5]
	v_add_f64 v[128:129], v[128:129], -v[134:135]
	v_fma_f64 v[134:135], v[130:131], s[2:3], -v[126:127]
	v_fma_f64 v[126:127], v[130:131], s[2:3], v[126:127]
	v_add_f64 v[134:135], v[134:135], v[139:140]
	v_mul_f64 v[139:140], v[128:129], s[4:5]
	v_add_f64 v[126:127], v[126:127], v[137:138]
	v_fma_f64 v[141:142], v[132:133], s[2:3], v[139:140]
	v_fma_f64 v[137:138], v[132:133], s[2:3], -v[139:140]
	v_mul_f64 v[139:140], v[122:123], s[38:39]
	v_add_f64 v[141:142], v[141:142], v[147:148]
	v_add_f64 v[137:138], v[137:138], v[145:146]
	v_fma_f64 v[143:144], v[130:131], s[26:27], -v[139:140]
	v_fma_f64 v[139:140], v[130:131], s[26:27], v[139:140]
	v_mul_f64 v[145:146], v[128:129], s[38:39]
	v_add_f64 v[143:144], v[143:144], v[151:152]
	v_add_f64 v[139:140], v[139:140], v[149:150]
	v_mul_f64 v[149:150], v[122:123], s[30:31]
	v_fma_f64 v[147:148], v[132:133], s[26:27], v[145:146]
	v_fma_f64 v[145:146], v[132:133], s[26:27], -v[145:146]
	v_fma_f64 v[151:152], v[130:131], s[12:13], -v[149:150]
	v_fma_f64 v[149:150], v[130:131], s[12:13], v[149:150]
	v_add_f64 v[145:146], v[145:146], v[153:154]
	v_mul_f64 v[153:154], v[128:129], s[30:31]
	v_add_f64 v[147:148], v[147:148], v[155:156]
	v_add_f64 v[151:152], v[151:152], v[159:160]
	;; [unrolled: 1-line block ×3, first 2 shown]
	v_mul_f64 v[157:158], v[122:123], s[22:23]
	v_fma_f64 v[155:156], v[132:133], s[12:13], v[153:154]
	v_fma_f64 v[153:154], v[132:133], s[12:13], -v[153:154]
	v_mul_f64 v[122:123], v[122:123], s[20:21]
	v_fma_f64 v[159:160], v[130:131], s[14:15], -v[157:158]
	v_fma_f64 v[157:158], v[130:131], s[14:15], v[157:158]
	v_add_f64 v[153:154], v[153:154], v[161:162]
	v_mul_f64 v[161:162], v[128:129], s[22:23]
	v_mul_f64 v[128:129], v[128:129], s[20:21]
	v_add_f64 v[155:156], v[155:156], v[163:164]
	v_add_f64 v[159:160], v[159:160], v[167:168]
	;; [unrolled: 1-line block ×3, first 2 shown]
	v_fma_f64 v[165:166], v[130:131], s[16:17], -v[122:123]
	v_fma_f64 v[122:123], v[130:131], s[16:17], v[122:123]
	v_add_f64 v[130:131], v[112:113], v[118:119]
	v_add_f64 v[112:113], v[112:113], -v[118:119]
	v_fma_f64 v[163:164], v[132:133], s[14:15], v[161:162]
	v_fma_f64 v[161:162], v[132:133], s[14:15], -v[161:162]
	v_fma_f64 v[167:168], v[132:133], s[16:17], v[128:129]
	v_add_f64 v[165:166], v[165:166], v[173:174]
	v_add_f64 v[104:105], v[122:123], v[104:105]
	v_fma_f64 v[122:123], v[132:133], s[16:17], -v[128:129]
	v_mul_f64 v[118:119], v[112:113], s[20:21]
	v_add_f64 v[163:164], v[163:164], v[171:172]
	v_add_f64 v[161:162], v[161:162], v[169:170]
	;; [unrolled: 1-line block ×5, first 2 shown]
	v_add_f64 v[120:121], v[120:121], -v[124:125]
	v_fma_f64 v[124:125], v[122:123], s[16:17], -v[118:119]
	v_fma_f64 v[118:119], v[122:123], s[16:17], v[118:119]
	v_add_f64 v[132:133], v[124:125], v[134:135]
	v_mul_f64 v[124:125], v[120:121], s[20:21]
	v_fma_f64 v[128:129], v[130:131], s[16:17], v[124:125]
	v_add_f64 v[134:135], v[128:129], v[141:142]
	v_add_f64 v[141:142], v[118:119], v[126:127]
	v_fma_f64 v[118:119], v[130:131], s[16:17], -v[124:125]
	v_add_f64 v[137:138], v[118:119], v[137:138]
	v_mul_f64 v[118:119], v[112:113], s[34:35]
	v_fma_f64 v[124:125], v[122:123], s[2:3], -v[118:119]
	v_fma_f64 v[118:119], v[122:123], s[2:3], v[118:119]
	v_add_f64 v[143:144], v[124:125], v[143:144]
	v_mul_f64 v[124:125], v[120:121], s[34:35]
	v_add_f64 v[139:140], v[118:119], v[139:140]
	v_fma_f64 v[118:119], v[130:131], s[2:3], -v[124:125]
	v_fma_f64 v[126:127], v[130:131], s[2:3], v[124:125]
	v_add_f64 v[145:146], v[118:119], v[145:146]
	v_mul_f64 v[118:119], v[112:113], s[22:23]
	v_add_f64 v[147:148], v[126:127], v[147:148]
	;; [unrolled: 5-line block ×3, first 2 shown]
	v_fma_f64 v[118:119], v[130:131], s[14:15], -v[124:125]
	v_fma_f64 v[126:127], v[130:131], s[14:15], v[124:125]
	v_add_f64 v[153:154], v[118:119], v[153:154]
	v_mul_f64 v[118:119], v[112:113], s[24:25]
	v_mul_f64 v[112:113], v[112:113], s[30:31]
	v_add_f64 v[155:156], v[126:127], v[155:156]
	v_fma_f64 v[124:125], v[122:123], s[26:27], -v[118:119]
	v_fma_f64 v[118:119], v[122:123], s[26:27], v[118:119]
	v_add_f64 v[159:160], v[124:125], v[159:160]
	v_mul_f64 v[124:125], v[120:121], s[24:25]
	v_add_f64 v[157:158], v[118:119], v[157:158]
	v_fma_f64 v[118:119], v[130:131], s[26:27], -v[124:125]
	v_fma_f64 v[126:127], v[130:131], s[26:27], v[124:125]
	v_add_f64 v[128:129], v[118:119], v[161:162]
	v_fma_f64 v[118:119], v[122:123], s[12:13], -v[112:113]
	v_add_f64 v[163:164], v[126:127], v[163:164]
	v_fma_f64 v[112:113], v[122:123], s[12:13], v[112:113]
	v_add_f64 v[122:123], v[114:115], v[116:117]
	v_add_f64 v[114:115], v[114:115], -v[116:117]
	v_add_f64 v[116:117], v[108:109], -v[110:111]
	v_add_f64 v[126:127], v[118:119], v[165:166]
	v_mul_f64 v[118:119], v[120:121], s[30:31]
	v_fma_f64 v[120:121], v[130:131], s[12:13], v[118:119]
	v_add_f64 v[124:125], v[120:121], v[167:168]
	v_add_f64 v[120:121], v[112:113], v[104:105]
	v_fma_f64 v[104:105], v[130:131], s[12:13], -v[118:119]
	v_add_f64 v[118:119], v[108:109], v[110:111]
	v_mul_f64 v[110:111], v[114:115], s[24:25]
	v_mul_f64 v[108:109], v[116:117], s[24:25]
	v_add_f64 v[112:113], v[104:105], v[106:107]
	v_fma_f64 v[106:107], v[118:119], s[26:27], v[110:111]
	v_fma_f64 v[104:105], v[122:123], s[26:27], -v[108:109]
	v_fma_f64 v[108:109], v[122:123], s[26:27], v[108:109]
	v_fma_f64 v[110:111], v[118:119], s[26:27], -v[110:111]
	v_add_f64 v[106:107], v[106:107], v[134:135]
	v_mul_f64 v[134:135], v[116:117], s[28:29]
	v_add_f64 v[108:109], v[108:109], v[141:142]
	v_mul_f64 v[141:142], v[114:115], s[28:29]
	v_add_f64 v[110:111], v[110:111], v[137:138]
	v_add_f64 v[104:105], v[104:105], v[132:133]
	v_fma_f64 v[130:131], v[122:123], s[14:15], -v[134:135]
	v_fma_f64 v[134:135], v[122:123], s[14:15], v[134:135]
	v_fma_f64 v[132:133], v[118:119], s[14:15], v[141:142]
	v_add_f64 v[130:131], v[130:131], v[143:144]
	v_add_f64 v[137:138], v[134:135], v[139:140]
	v_fma_f64 v[134:135], v[118:119], s[14:15], -v[141:142]
	v_add_f64 v[132:133], v[132:133], v[147:148]
	v_mul_f64 v[147:148], v[114:115], s[20:21]
	v_add_f64 v[139:140], v[134:135], v[145:146]
	v_mul_f64 v[134:135], v[116:117], s[20:21]
	v_fma_f64 v[143:144], v[118:119], s[16:17], v[147:148]
	v_fma_f64 v[141:142], v[122:123], s[16:17], -v[134:135]
	v_fma_f64 v[134:135], v[122:123], s[16:17], v[134:135]
	v_add_f64 v[143:144], v[143:144], v[155:156]
	v_mul_f64 v[155:156], v[114:115], s[30:31]
	v_add_f64 v[141:142], v[141:142], v[151:152]
	v_add_f64 v[145:146], v[134:135], v[149:150]
	v_fma_f64 v[134:135], v[118:119], s[16:17], -v[147:148]
	v_fma_f64 v[151:152], v[118:119], s[12:13], v[155:156]
	v_add_f64 v[147:148], v[134:135], v[153:154]
	v_mul_f64 v[134:135], v[116:117], s[30:31]
	v_mul_f64 v[116:117], v[116:117], s[4:5]
	v_add_f64 v[151:152], v[151:152], v[163:164]
	v_fma_f64 v[149:150], v[122:123], s[12:13], -v[134:135]
	v_fma_f64 v[134:135], v[122:123], s[12:13], v[134:135]
	v_add_f64 v[149:150], v[149:150], v[159:160]
	v_add_f64 v[153:154], v[134:135], v[157:158]
	v_fma_f64 v[134:135], v[118:119], s[12:13], -v[155:156]
	v_add_f64 v[155:156], v[134:135], v[128:129]
	v_mul_f64 v[134:135], v[114:115], s[4:5]
	v_fma_f64 v[128:129], v[122:123], s[2:3], -v[116:117]
	v_fma_f64 v[114:115], v[118:119], s[2:3], v[134:135]
	v_add_f64 v[126:127], v[128:129], v[126:127]
	v_add_f64 v[128:129], v[114:115], v[124:125]
	v_fma_f64 v[114:115], v[122:123], s[2:3], v[116:117]
	v_fma_f64 v[116:117], v[118:119], s[2:3], -v[134:135]
	v_add_f64 v[114:115], v[114:115], v[120:121]
	v_add_f64 v[116:117], v[116:117], v[112:113]
	v_lshrrev_b32_e32 v112, 4, v188
	v_mul_u32_u24_e32 v112, 0xb0, v112
	v_or_b32_e32 v112, v112, v136
	v_lshlrev_b32_e32 v206, 4, v112
	ds_write_b128 v206, v[100:103]
	ds_write_b128 v206, v[104:107] offset:256
	ds_write_b128 v206, v[130:133] offset:512
	;; [unrolled: 1-line block ×10, first 2 shown]
	v_add_co_u32 v128, s1, 0xae0, v211
	v_add_co_ci_u32_e64 v129, s1, 0, v212, s1
	v_add_co_u32 v213, s1, 0x800, v211
	v_add_co_ci_u32_e64 v214, s1, 0, v212, s1
	s_waitcnt lgkmcnt(0)
	s_barrier
	buffer_gl0_inv
	ds_read_b128 v[140:143], v185
	ds_read_b128 v[100:103], v185 offset:2816
	ds_read_b128 v[104:107], v185 offset:5632
	;; [unrolled: 1-line block ×10, first 2 shown]
	s_clause 0x3
	global_load_dwordx4 v[124:127], v[213:214], off offset:736
	global_load_dwordx4 v[108:111], v[128:129], off offset:48
	;; [unrolled: 1-line block ×4, first 2 shown]
	s_waitcnt vmcnt(3) lgkmcnt(9)
	v_mul_f64 v[152:153], v[102:103], v[126:127]
	v_fma_f64 v[215:216], v[100:101], v[124:125], -v[152:153]
	v_mul_f64 v[100:101], v[100:101], v[126:127]
	v_fma_f64 v[217:218], v[102:103], v[124:125], v[100:101]
	s_waitcnt vmcnt(0) lgkmcnt(8)
	v_mul_f64 v[100:101], v[106:107], v[130:131]
	v_fma_f64 v[178:179], v[104:105], v[128:129], -v[100:101]
	v_mul_f64 v[100:101], v[104:105], v[130:131]
	v_fma_f64 v[176:177], v[106:107], v[128:129], v[100:101]
	s_waitcnt lgkmcnt(7)
	v_mul_f64 v[100:101], v[118:119], v[114:115]
	v_fma_f64 v[172:173], v[116:117], v[112:113], -v[100:101]
	v_mul_f64 v[100:101], v[116:117], v[114:115]
	v_add_co_u32 v116, s1, 0xb20, v211
	v_add_co_ci_u32_e64 v117, s1, 0, v212, s1
	v_fma_f64 v[168:169], v[118:119], v[112:113], v[100:101]
	s_waitcnt lgkmcnt(6)
	v_mul_f64 v[100:101], v[122:123], v[110:111]
	v_fma_f64 v[164:165], v[120:121], v[108:109], -v[100:101]
	v_mul_f64 v[100:101], v[120:121], v[110:111]
	v_fma_f64 v[160:161], v[122:123], v[108:109], v[100:101]
	s_clause 0x3
	global_load_dwordx4 v[120:123], v[213:214], off offset:800
	global_load_dwordx4 v[100:103], v[116:117], off offset:48
	;; [unrolled: 1-line block ×4, first 2 shown]
	s_waitcnt vmcnt(3) lgkmcnt(5)
	v_mul_f64 v[152:153], v[134:135], v[122:123]
	v_fma_f64 v[156:157], v[132:133], v[120:121], -v[152:153]
	v_mul_f64 v[132:133], v[132:133], v[122:123]
	v_fma_f64 v[152:153], v[134:135], v[120:121], v[132:133]
	s_waitcnt vmcnt(0) lgkmcnt(4)
	v_mul_f64 v[132:133], v[138:139], v[118:119]
	v_fma_f64 v[158:159], v[136:137], v[116:117], -v[132:133]
	v_mul_f64 v[132:133], v[136:137], v[118:119]
	v_add_co_u32 v136, s1, 0xb60, v211
	v_add_co_ci_u32_e64 v137, s1, 0, v212, s1
	v_fma_f64 v[154:155], v[138:139], v[116:117], v[132:133]
	s_waitcnt lgkmcnt(3)
	v_mul_f64 v[132:133], v[182:183], v[106:107]
	v_fma_f64 v[166:167], v[180:181], v[104:105], -v[132:133]
	v_mul_f64 v[132:133], v[180:181], v[106:107]
	v_fma_f64 v[162:163], v[182:183], v[104:105], v[132:133]
	s_waitcnt lgkmcnt(2)
	v_mul_f64 v[132:133], v[209:210], v[102:103]
	v_fma_f64 v[174:175], v[207:208], v[100:101], -v[132:133]
	v_mul_f64 v[132:133], v[207:208], v[102:103]
	v_fma_f64 v[170:171], v[209:210], v[100:101], v[132:133]
	s_clause 0x1
	global_load_dwordx4 v[132:135], v[213:214], off offset:864
	global_load_dwordx4 v[136:139], v[136:137], off offset:16
	s_waitcnt vmcnt(1) lgkmcnt(1)
	v_mul_f64 v[180:181], v[150:151], v[134:135]
	v_fma_f64 v[180:181], v[148:149], v[132:133], -v[180:181]
	v_mul_f64 v[148:149], v[148:149], v[134:135]
	v_fma_f64 v[148:149], v[150:151], v[132:133], v[148:149]
	s_waitcnt vmcnt(0) lgkmcnt(0)
	v_mul_f64 v[150:151], v[146:147], v[138:139]
	v_fma_f64 v[150:151], v[144:145], v[136:137], -v[150:151]
	v_mul_f64 v[144:145], v[144:145], v[138:139]
	v_add_f64 v[207:208], v[215:216], v[150:151]
	v_fma_f64 v[182:183], v[146:147], v[136:137], v[144:145]
	v_add_f64 v[146:147], v[142:143], v[217:218]
	v_add_f64 v[144:145], v[140:141], v[215:216]
	;; [unrolled: 1-line block ×20, first 2 shown]
	v_add_f64 v[182:183], v[217:218], -v[182:183]
	v_add_f64 v[144:145], v[144:145], v[150:151]
	v_add_f64 v[150:151], v[215:216], -v[150:151]
	v_mul_f64 v[211:212], v[182:183], s[22:23]
	v_mul_f64 v[219:220], v[182:183], s[36:37]
	;; [unrolled: 1-line block ×10, first 2 shown]
	v_fma_f64 v[213:214], v[207:208], s[14:15], -v[211:212]
	v_fma_f64 v[211:212], v[207:208], s[14:15], v[211:212]
	v_fma_f64 v[221:222], v[207:208], s[12:13], -v[219:220]
	v_fma_f64 v[219:220], v[207:208], s[12:13], v[219:220]
	;; [unrolled: 2-line block ×5, first 2 shown]
	v_fma_f64 v[217:218], v[209:210], s[14:15], v[215:216]
	v_fma_f64 v[215:216], v[209:210], s[14:15], -v[215:216]
	v_fma_f64 v[225:226], v[209:210], s[12:13], v[223:224]
	v_fma_f64 v[223:224], v[209:210], s[12:13], -v[223:224]
	;; [unrolled: 2-line block ×5, first 2 shown]
	v_add_f64 v[213:214], v[140:141], v[213:214]
	v_add_f64 v[211:212], v[140:141], v[211:212]
	;; [unrolled: 1-line block ×11, first 2 shown]
	v_add_f64 v[148:149], v[176:177], -v[148:149]
	v_add_f64 v[217:218], v[142:143], v[217:218]
	v_add_f64 v[215:216], v[142:143], v[215:216]
	;; [unrolled: 1-line block ×11, first 2 shown]
	v_add_f64 v[178:179], v[178:179], -v[180:181]
	v_mul_f64 v[176:177], v[148:149], s[36:37]
	v_mul_f64 v[207:208], v[178:179], s[36:37]
	v_fma_f64 v[180:181], v[150:151], s[12:13], -v[176:177]
	v_fma_f64 v[176:177], v[150:151], s[12:13], v[176:177]
	v_fma_f64 v[209:210], v[182:183], s[12:13], v[207:208]
	v_fma_f64 v[207:208], v[182:183], s[12:13], -v[207:208]
	v_add_f64 v[180:181], v[180:181], v[213:214]
	v_add_f64 v[176:177], v[176:177], v[211:212]
	v_mul_f64 v[211:212], v[148:149], s[20:21]
	v_add_f64 v[209:210], v[209:210], v[217:218]
	v_add_f64 v[207:208], v[207:208], v[215:216]
	v_mul_f64 v[215:216], v[178:179], s[20:21]
	v_fma_f64 v[213:214], v[150:151], s[16:17], -v[211:212]
	v_fma_f64 v[211:212], v[150:151], s[16:17], v[211:212]
	v_fma_f64 v[217:218], v[182:183], s[16:17], v[215:216]
	v_fma_f64 v[215:216], v[182:183], s[16:17], -v[215:216]
	v_add_f64 v[213:214], v[213:214], v[221:222]
	v_add_f64 v[211:212], v[211:212], v[219:220]
	v_mul_f64 v[219:220], v[148:149], s[38:39]
	v_add_f64 v[217:218], v[217:218], v[225:226]
	v_add_f64 v[215:216], v[215:216], v[223:224]
	v_mul_f64 v[223:224], v[178:179], s[38:39]
	v_fma_f64 v[221:222], v[150:151], s[26:27], -v[219:220]
	v_fma_f64 v[219:220], v[150:151], s[26:27], v[219:220]
	v_fma_f64 v[225:226], v[182:183], s[26:27], v[223:224]
	v_fma_f64 v[223:224], v[182:183], s[26:27], -v[223:224]
	v_add_f64 v[221:222], v[221:222], v[229:230]
	v_add_f64 v[219:220], v[219:220], v[227:228]
	v_mul_f64 v[227:228], v[148:149], s[34:35]
	v_mul_f64 v[148:149], v[148:149], s[28:29]
	v_add_f64 v[225:226], v[225:226], v[233:234]
	v_add_f64 v[223:224], v[223:224], v[231:232]
	v_mul_f64 v[231:232], v[178:179], s[34:35]
	v_mul_f64 v[178:179], v[178:179], s[28:29]
	v_fma_f64 v[229:230], v[150:151], s[2:3], -v[227:228]
	v_fma_f64 v[227:228], v[150:151], s[2:3], v[227:228]
	v_fma_f64 v[233:234], v[182:183], s[2:3], v[231:232]
	v_fma_f64 v[231:232], v[182:183], s[2:3], -v[231:232]
	v_add_f64 v[229:230], v[229:230], v[237:238]
	v_add_f64 v[227:228], v[227:228], v[235:236]
	v_fma_f64 v[235:236], v[150:151], s[14:15], -v[148:149]
	v_fma_f64 v[148:149], v[150:151], s[14:15], v[148:149]
	v_add_f64 v[150:151], v[168:169], v[170:171]
	v_add_f64 v[168:169], v[168:169], -v[170:171]
	v_fma_f64 v[237:238], v[182:183], s[14:15], v[178:179]
	v_add_f64 v[233:234], v[233:234], v[241:242]
	v_add_f64 v[231:232], v[231:232], v[239:240]
	v_add_f64 v[235:236], v[235:236], v[243:244]
	v_add_f64 v[140:141], v[148:149], v[140:141]
	v_fma_f64 v[148:149], v[182:183], s[14:15], -v[178:179]
	v_mul_f64 v[170:171], v[168:169], s[4:5]
	v_add_f64 v[237:238], v[237:238], v[245:246]
	v_add_f64 v[142:143], v[148:149], v[142:143]
	;; [unrolled: 1-line block ×3, first 2 shown]
	v_add_f64 v[172:173], v[172:173], -v[174:175]
	v_fma_f64 v[174:175], v[148:149], s[2:3], -v[170:171]
	v_mul_f64 v[178:179], v[172:173], s[4:5]
	v_fma_f64 v[170:171], v[148:149], s[2:3], v[170:171]
	v_add_f64 v[174:175], v[174:175], v[180:181]
	v_fma_f64 v[180:181], v[150:151], s[2:3], v[178:179]
	v_add_f64 v[170:171], v[170:171], v[176:177]
	v_fma_f64 v[176:177], v[150:151], s[2:3], -v[178:179]
	v_mul_f64 v[178:179], v[168:169], s[38:39]
	v_add_f64 v[180:181], v[180:181], v[209:210]
	v_add_f64 v[176:177], v[176:177], v[207:208]
	v_fma_f64 v[182:183], v[148:149], s[26:27], -v[178:179]
	v_fma_f64 v[178:179], v[148:149], s[26:27], v[178:179]
	v_mul_f64 v[207:208], v[172:173], s[38:39]
	v_add_f64 v[182:183], v[182:183], v[213:214]
	v_add_f64 v[178:179], v[178:179], v[211:212]
	v_mul_f64 v[211:212], v[168:169], s[30:31]
	v_fma_f64 v[209:210], v[150:151], s[26:27], v[207:208]
	v_fma_f64 v[207:208], v[150:151], s[26:27], -v[207:208]
	v_fma_f64 v[213:214], v[148:149], s[12:13], -v[211:212]
	v_fma_f64 v[211:212], v[148:149], s[12:13], v[211:212]
	v_add_f64 v[207:208], v[207:208], v[215:216]
	v_mul_f64 v[215:216], v[172:173], s[30:31]
	v_add_f64 v[209:210], v[209:210], v[217:218]
	v_add_f64 v[213:214], v[213:214], v[221:222]
	;; [unrolled: 1-line block ×3, first 2 shown]
	v_mul_f64 v[219:220], v[168:169], s[22:23]
	v_fma_f64 v[217:218], v[150:151], s[12:13], v[215:216]
	v_fma_f64 v[215:216], v[150:151], s[12:13], -v[215:216]
	v_mul_f64 v[168:169], v[168:169], s[20:21]
	v_fma_f64 v[221:222], v[148:149], s[14:15], -v[219:220]
	v_fma_f64 v[219:220], v[148:149], s[14:15], v[219:220]
	v_add_f64 v[215:216], v[215:216], v[223:224]
	v_mul_f64 v[223:224], v[172:173], s[22:23]
	v_mul_f64 v[172:173], v[172:173], s[20:21]
	v_add_f64 v[217:218], v[217:218], v[225:226]
	v_add_f64 v[221:222], v[221:222], v[229:230]
	v_add_f64 v[219:220], v[219:220], v[227:228]
	v_fma_f64 v[227:228], v[148:149], s[16:17], -v[168:169]
	v_fma_f64 v[148:149], v[148:149], s[16:17], v[168:169]
	v_fma_f64 v[225:226], v[150:151], s[14:15], v[223:224]
	v_fma_f64 v[223:224], v[150:151], s[14:15], -v[223:224]
	v_fma_f64 v[229:230], v[150:151], s[16:17], v[172:173]
	v_add_f64 v[227:228], v[227:228], v[235:236]
	v_add_f64 v[140:141], v[148:149], v[140:141]
	v_fma_f64 v[148:149], v[150:151], s[16:17], -v[172:173]
	v_add_f64 v[150:151], v[160:161], v[162:163]
	v_add_f64 v[160:161], v[160:161], -v[162:163]
	v_add_f64 v[223:224], v[223:224], v[231:232]
	v_add_f64 v[225:226], v[225:226], v[233:234]
	;; [unrolled: 1-line block ×5, first 2 shown]
	v_mul_f64 v[162:163], v[160:161], s[20:21]
	v_add_f64 v[164:165], v[164:165], -v[166:167]
	v_fma_f64 v[166:167], v[148:149], s[16:17], -v[162:163]
	v_fma_f64 v[162:163], v[148:149], s[16:17], v[162:163]
	v_add_f64 v[172:173], v[166:167], v[174:175]
	v_mul_f64 v[166:167], v[164:165], s[20:21]
	v_fma_f64 v[168:169], v[150:151], s[16:17], v[166:167]
	v_add_f64 v[174:175], v[168:169], v[180:181]
	v_add_f64 v[180:181], v[162:163], v[170:171]
	v_fma_f64 v[162:163], v[150:151], s[16:17], -v[166:167]
	v_add_f64 v[176:177], v[162:163], v[176:177]
	v_mul_f64 v[162:163], v[160:161], s[34:35]
	v_fma_f64 v[166:167], v[148:149], s[2:3], -v[162:163]
	v_fma_f64 v[162:163], v[148:149], s[2:3], v[162:163]
	v_add_f64 v[182:183], v[166:167], v[182:183]
	v_mul_f64 v[166:167], v[164:165], s[34:35]
	v_add_f64 v[178:179], v[162:163], v[178:179]
	v_fma_f64 v[162:163], v[150:151], s[2:3], -v[166:167]
	v_fma_f64 v[168:169], v[150:151], s[2:3], v[166:167]
	v_add_f64 v[207:208], v[162:163], v[207:208]
	v_mul_f64 v[162:163], v[160:161], s[22:23]
	v_add_f64 v[209:210], v[168:169], v[209:210]
	;; [unrolled: 5-line block ×3, first 2 shown]
	v_fma_f64 v[162:163], v[150:151], s[14:15], -v[166:167]
	v_fma_f64 v[168:169], v[150:151], s[14:15], v[166:167]
	v_add_f64 v[215:216], v[162:163], v[215:216]
	v_mul_f64 v[162:163], v[160:161], s[24:25]
	v_mul_f64 v[160:161], v[160:161], s[30:31]
	v_add_f64 v[217:218], v[168:169], v[217:218]
	v_fma_f64 v[166:167], v[148:149], s[26:27], -v[162:163]
	v_fma_f64 v[162:163], v[148:149], s[26:27], v[162:163]
	v_add_f64 v[221:222], v[166:167], v[221:222]
	v_mul_f64 v[166:167], v[164:165], s[24:25]
	v_add_f64 v[219:220], v[162:163], v[219:220]
	v_fma_f64 v[162:163], v[150:151], s[26:27], -v[166:167]
	v_fma_f64 v[168:169], v[150:151], s[26:27], v[166:167]
	v_add_f64 v[166:167], v[156:157], v[158:159]
	v_add_f64 v[156:157], v[156:157], -v[158:159]
	v_add_f64 v[158:159], v[152:153], -v[154:155]
	v_add_f64 v[223:224], v[162:163], v[223:224]
	v_fma_f64 v[162:163], v[148:149], s[12:13], -v[160:161]
	v_fma_f64 v[148:149], v[148:149], s[12:13], v[160:161]
	v_add_f64 v[225:226], v[168:169], v[225:226]
	v_add_f64 v[170:171], v[162:163], v[227:228]
	v_mul_f64 v[162:163], v[164:165], s[30:31]
	v_fma_f64 v[164:165], v[150:151], s[12:13], v[162:163]
	v_add_f64 v[168:169], v[164:165], v[229:230]
	v_add_f64 v[164:165], v[148:149], v[140:141]
	v_fma_f64 v[140:141], v[150:151], s[12:13], -v[162:163]
	v_add_f64 v[162:163], v[152:153], v[154:155]
	v_add_f64 v[160:161], v[140:141], v[142:143]
	v_mul_f64 v[140:141], v[158:159], s[24:25]
	v_fma_f64 v[142:143], v[166:167], s[26:27], -v[140:141]
	v_fma_f64 v[140:141], v[166:167], s[26:27], v[140:141]
	v_add_f64 v[148:149], v[142:143], v[172:173]
	v_mul_f64 v[142:143], v[156:157], s[24:25]
	v_mul_f64 v[172:173], v[158:159], s[28:29]
	v_add_f64 v[140:141], v[140:141], v[180:181]
	v_mul_f64 v[180:181], v[158:159], s[20:21]
	v_fma_f64 v[150:151], v[162:163], s[26:27], v[142:143]
	v_fma_f64 v[142:143], v[162:163], s[26:27], -v[142:143]
	v_fma_f64 v[152:153], v[166:167], s[14:15], -v[172:173]
	v_fma_f64 v[172:173], v[166:167], s[14:15], v[172:173]
	v_add_f64 v[150:151], v[150:151], v[174:175]
	v_add_f64 v[142:143], v[142:143], v[176:177]
	;; [unrolled: 1-line block ×3, first 2 shown]
	v_fma_f64 v[176:177], v[166:167], s[16:17], -v[180:181]
	v_mul_f64 v[182:183], v[156:157], s[20:21]
	v_fma_f64 v[180:181], v[166:167], s[16:17], v[180:181]
	v_add_f64 v[172:173], v[172:173], v[178:179]
	v_mul_f64 v[174:175], v[156:157], s[28:29]
	v_add_f64 v[176:177], v[176:177], v[213:214]
	v_fma_f64 v[178:179], v[162:163], s[16:17], v[182:183]
	v_add_f64 v[180:181], v[180:181], v[211:212]
	v_fma_f64 v[182:183], v[162:163], s[16:17], -v[182:183]
	v_mul_f64 v[211:212], v[158:159], s[30:31]
	v_mul_f64 v[158:159], v[158:159], s[4:5]
	v_fma_f64 v[154:155], v[162:163], s[14:15], v[174:175]
	v_fma_f64 v[174:175], v[162:163], s[14:15], -v[174:175]
	v_mul_f64 v[213:214], v[156:157], s[30:31]
	v_add_f64 v[178:179], v[178:179], v[217:218]
	v_add_f64 v[182:183], v[182:183], v[215:216]
	v_fma_f64 v[215:216], v[166:167], s[2:3], -v[158:159]
	v_add_f64 v[154:155], v[154:155], v[209:210]
	v_add_f64 v[174:175], v[174:175], v[207:208]
	v_fma_f64 v[207:208], v[166:167], s[12:13], -v[211:212]
	v_fma_f64 v[209:210], v[162:163], s[12:13], v[213:214]
	v_fma_f64 v[211:212], v[166:167], s[12:13], v[211:212]
	v_fma_f64 v[213:214], v[162:163], s[12:13], -v[213:214]
	v_add_f64 v[215:216], v[215:216], v[170:171]
	v_mul_f64 v[170:171], v[156:157], s[4:5]
	v_add_f64 v[207:208], v[207:208], v[221:222]
	v_add_f64 v[209:210], v[209:210], v[225:226]
	;; [unrolled: 1-line block ×4, first 2 shown]
	v_fma_f64 v[156:157], v[162:163], s[2:3], v[170:171]
	v_add_f64 v[217:218], v[156:157], v[168:169]
	v_fma_f64 v[156:157], v[166:167], s[2:3], v[158:159]
	v_fma_f64 v[158:159], v[162:163], s[2:3], -v[170:171]
	v_add_f64 v[156:157], v[156:157], v[164:165]
	v_add_f64 v[158:159], v[158:159], v[160:161]
	ds_write_b128 v185, v[144:147]
	ds_write_b128 v185, v[148:151] offset:2816
	ds_write_b128 v185, v[152:155] offset:5632
	;; [unrolled: 1-line block ×10, first 2 shown]
	v_add_co_u32 v148, s1, 0x7800, v186
	v_add_co_ci_u32_e64 v149, s1, 0, v187, s1
	s_waitcnt lgkmcnt(0)
	s_barrier
	buffer_gl0_inv
	global_load_dwordx4 v[148:151], v[148:149], off offset:256
	ds_read_b128 v[144:147], v185
	s_waitcnt vmcnt(0) lgkmcnt(0)
	v_mul_f64 v[152:153], v[146:147], v[150:151]
	v_fma_f64 v[152:153], v[144:145], v[148:149], -v[152:153]
	v_mul_f64 v[144:145], v[144:145], v[150:151]
	v_fma_f64 v[154:155], v[146:147], v[148:149], v[144:145]
	v_add_co_u32 v148, s1, 0xb000, v186
	v_add_co_ci_u32_e64 v149, s1, 0, v187, s1
	ds_read_b128 v[144:147], v185 offset:15488
	global_load_dwordx4 v[148:151], v[148:149], off offset:1408
	ds_write_b128 v185, v[152:155]
	s_waitcnt vmcnt(0) lgkmcnt(1)
	v_mul_f64 v[152:153], v[146:147], v[150:151]
	v_fma_f64 v[152:153], v[144:145], v[148:149], -v[152:153]
	v_mul_f64 v[144:145], v[144:145], v[150:151]
	v_fma_f64 v[154:155], v[146:147], v[148:149], v[144:145]
	v_add_co_u32 v148, s1, 0x8000, v186
	v_add_co_ci_u32_e64 v149, s1, 0, v187, s1
	ds_read_b128 v[144:147], v185 offset:2816
	global_load_dwordx4 v[148:151], v[148:149], off offset:1024
	ds_write_b128 v185, v[152:155] offset:15488
	s_waitcnt vmcnt(0) lgkmcnt(1)
	v_mul_f64 v[152:153], v[146:147], v[150:151]
	v_fma_f64 v[152:153], v[144:145], v[148:149], -v[152:153]
	v_mul_f64 v[144:145], v[144:145], v[150:151]
	v_fma_f64 v[154:155], v[146:147], v[148:149], v[144:145]
	v_add_co_u32 v148, s1, 0xc000, v186
	v_add_co_ci_u32_e64 v149, s1, 0, v187, s1
	ds_read_b128 v[144:147], v185 offset:18304
	global_load_dwordx4 v[148:151], v[148:149], off offset:128
	ds_write_b128 v185, v[152:155] offset:2816
	;; [unrolled: 10-line block ×8, first 2 shown]
	s_waitcnt vmcnt(0) lgkmcnt(1)
	v_mul_f64 v[152:153], v[146:147], v[150:151]
	v_fma_f64 v[152:153], v[144:145], v[148:149], -v[152:153]
	v_mul_f64 v[144:145], v[144:145], v[150:151]
	v_fma_f64 v[154:155], v[146:147], v[148:149], v[144:145]
	ds_write_b128 v185, v[152:155] offset:26752
	s_and_saveexec_b32 s2, vcc_lo
	s_cbranch_execz .LBB0_17
; %bb.16:
	v_add_co_u32 v146, s1, 0x7900, v186
	v_add_co_ci_u32_e64 v147, s1, 0, v187, s1
	v_add_co_u32 v144, s1, 0x3000, v146
	v_add_co_ci_u32_e64 v145, s1, 0, v147, s1
	;; [unrolled: 2-line block ×3, first 2 shown]
	s_clause 0x1
	global_load_dwordx4 v[144:147], v[144:145], off offset:1792
	global_load_dwordx4 v[148:151], v[148:149], off offset:896
	ds_read_b128 v[152:155], v185 offset:14080
	ds_read_b128 v[156:159], v185 offset:29568
	s_waitcnt vmcnt(1) lgkmcnt(1)
	v_mul_f64 v[160:161], v[154:155], v[146:147]
	v_mul_f64 v[146:147], v[152:153], v[146:147]
	s_waitcnt vmcnt(0) lgkmcnt(0)
	v_mul_f64 v[162:163], v[158:159], v[150:151]
	v_mul_f64 v[164:165], v[156:157], v[150:151]
	v_fma_f64 v[150:151], v[152:153], v[144:145], -v[160:161]
	v_fma_f64 v[152:153], v[154:155], v[144:145], v[146:147]
	v_fma_f64 v[144:145], v[156:157], v[148:149], -v[162:163]
	v_fma_f64 v[146:147], v[158:159], v[148:149], v[164:165]
	ds_write_b128 v185, v[150:153] offset:14080
	ds_write_b128 v185, v[144:147] offset:29568
.LBB0_17:
	s_or_b32 exec_lo, exec_lo, s2
	s_waitcnt lgkmcnt(0)
	s_barrier
	buffer_gl0_inv
	ds_read_b128 v[144:147], v185
	ds_read_b128 v[148:151], v185 offset:2816
	ds_read_b128 v[176:179], v185 offset:18304
	;; [unrolled: 1-line block ×9, first 2 shown]
	s_and_saveexec_b32 s1, vcc_lo
	s_cbranch_execz .LBB0_19
; %bb.18:
	ds_read_b128 v[140:143], v185 offset:14080
	ds_read_b128 v[96:99], v185 offset:29568
.LBB0_19:
	s_or_b32 exec_lo, exec_lo, s1
	s_waitcnt lgkmcnt(3)
	v_add_f64 v[180:181], v[144:145], -v[180:181]
	v_add_f64 v[182:183], v[146:147], -v[182:183]
	s_waitcnt lgkmcnt(0)
	v_add_f64 v[96:97], v[140:141], -v[96:97]
	v_add_f64 v[98:99], v[142:143], -v[98:99]
	;; [unrolled: 1-line block ×10, first 2 shown]
	s_barrier
	buffer_gl0_inv
	v_fma_f64 v[207:208], v[144:145], 2.0, -v[180:181]
	v_fma_f64 v[209:210], v[146:147], 2.0, -v[182:183]
	;; [unrolled: 1-line block ×12, first 2 shown]
	ds_write_b128 v191, v[180:183] offset:16
	ds_write_b128 v191, v[207:210]
	ds_write_b128 v192, v[148:151]
	ds_write_b128 v192, v[176:179] offset:16
	ds_write_b128 v193, v[156:159]
	ds_write_b128 v193, v[172:175] offset:16
	;; [unrolled: 2-line block ×4, first 2 shown]
	s_and_saveexec_b32 s1, vcc_lo
	s_cbranch_execz .LBB0_21
; %bb.20:
	ds_write_b128 v194, v[144:147]
	ds_write_b128 v194, v[96:99] offset:16
.LBB0_21:
	s_or_b32 exec_lo, exec_lo, s1
	s_waitcnt lgkmcnt(0)
	s_barrier
	buffer_gl0_inv
	ds_read_b128 v[148:151], v185
	ds_read_b128 v[152:155], v185 offset:2816
	ds_read_b128 v[140:143], v185 offset:18304
	;; [unrolled: 1-line block ×9, first 2 shown]
	s_and_saveexec_b32 s1, vcc_lo
	s_cbranch_execz .LBB0_23
; %bb.22:
	ds_read_b128 v[144:147], v185 offset:14080
	ds_read_b128 v[96:99], v185 offset:29568
.LBB0_23:
	s_or_b32 exec_lo, exec_lo, s1
	s_waitcnt lgkmcnt(3)
	v_mul_f64 v[191:192], v[70:71], v[182:183]
	v_mul_f64 v[193:194], v[70:71], v[180:181]
	;; [unrolled: 1-line block ×6, first 2 shown]
	s_waitcnt lgkmcnt(1)
	v_mul_f64 v[213:214], v[70:71], v[178:179]
	v_mul_f64 v[215:216], v[70:71], v[176:177]
	s_waitcnt lgkmcnt(0)
	v_mul_f64 v[217:218], v[70:71], v[174:175]
	v_mul_f64 v[219:220], v[70:71], v[172:173]
	;; [unrolled: 1-line block ×4, first 2 shown]
	s_barrier
	buffer_gl0_inv
	v_fma_f64 v[180:181], v[68:69], v[180:181], v[191:192]
	v_fma_f64 v[182:183], v[68:69], v[182:183], -v[193:194]
	v_fma_f64 v[140:141], v[68:69], v[140:141], v[195:196]
	v_fma_f64 v[142:143], v[68:69], v[142:143], -v[207:208]
	;; [unrolled: 2-line block ×6, first 2 shown]
	v_add_f64 v[168:169], v[148:149], -v[180:181]
	v_add_f64 v[170:171], v[150:151], -v[182:183]
	;; [unrolled: 1-line block ×12, first 2 shown]
	v_fma_f64 v[148:149], v[148:149], 2.0, -v[168:169]
	v_fma_f64 v[150:151], v[150:151], 2.0, -v[170:171]
	v_fma_f64 v[152:153], v[152:153], 2.0, -v[172:173]
	v_fma_f64 v[154:155], v[154:155], 2.0, -v[174:175]
	v_fma_f64 v[160:161], v[160:161], 2.0, -v[176:177]
	v_fma_f64 v[162:163], v[162:163], 2.0, -v[178:179]
	v_fma_f64 v[156:157], v[156:157], 2.0, -v[180:181]
	v_fma_f64 v[158:159], v[158:159], 2.0, -v[182:183]
	v_fma_f64 v[68:69], v[164:165], 2.0, -v[96:97]
	v_fma_f64 v[70:71], v[166:167], 2.0, -v[98:99]
	v_fma_f64 v[144:145], v[144:145], 2.0, -v[140:141]
	v_fma_f64 v[146:147], v[146:147], 2.0, -v[142:143]
	ds_write_b128 v203, v[168:171] offset:32
	ds_write_b128 v203, v[148:151]
	ds_write_b128 v202, v[152:155]
	ds_write_b128 v202, v[172:175] offset:32
	ds_write_b128 v201, v[160:163]
	ds_write_b128 v201, v[176:179] offset:32
	;; [unrolled: 2-line block ×4, first 2 shown]
	s_and_saveexec_b32 s1, vcc_lo
	s_cbranch_execz .LBB0_25
; %bb.24:
	v_and_or_b32 v148, 0x7fc, v197, v190
	v_lshlrev_b32_e32 v148, 4, v148
	ds_write_b128 v148, v[144:147]
	ds_write_b128 v148, v[140:143] offset:32
.LBB0_25:
	s_or_b32 exec_lo, exec_lo, s1
	s_waitcnt lgkmcnt(0)
	s_barrier
	buffer_gl0_inv
	ds_read_b128 v[148:151], v185
	ds_read_b128 v[152:155], v185 offset:2816
	ds_read_b128 v[168:171], v185 offset:7744
	;; [unrolled: 1-line block ×7, first 2 shown]
	s_and_saveexec_b32 s1, s0
	s_cbranch_execz .LBB0_27
; %bb.26:
	ds_read_b128 v[68:71], v185 offset:5632
	ds_read_b128 v[96:99], v185 offset:13376
	;; [unrolled: 1-line block ×4, first 2 shown]
.LBB0_27:
	s_or_b32 exec_lo, exec_lo, s1
	s_waitcnt lgkmcnt(5)
	v_mul_f64 v[180:181], v[50:51], v[170:171]
	v_mul_f64 v[182:183], v[50:51], v[168:169]
	s_waitcnt lgkmcnt(3)
	v_mul_f64 v[190:191], v[46:47], v[174:175]
	v_mul_f64 v[192:193], v[46:47], v[172:173]
	;; [unrolled: 3-line block ×3, first 2 shown]
	v_mul_f64 v[198:199], v[50:51], v[158:159]
	v_mul_f64 v[201:202], v[50:51], v[156:157]
	;; [unrolled: 1-line block ×4, first 2 shown]
	s_waitcnt lgkmcnt(0)
	v_mul_f64 v[211:212], v[42:43], v[166:167]
	v_mul_f64 v[213:214], v[42:43], v[164:165]
	s_barrier
	buffer_gl0_inv
	v_fma_f64 v[168:169], v[48:49], v[168:169], v[180:181]
	v_fma_f64 v[170:171], v[48:49], v[170:171], -v[182:183]
	v_fma_f64 v[172:173], v[44:45], v[172:173], v[190:191]
	v_fma_f64 v[174:175], v[44:45], v[174:175], -v[192:193]
	;; [unrolled: 2-line block ×6, first 2 shown]
	v_add_f64 v[172:173], v[148:149], -v[172:173]
	v_add_f64 v[174:175], v[150:151], -v[174:175]
	;; [unrolled: 1-line block ×8, first 2 shown]
	v_fma_f64 v[190:191], v[148:149], 2.0, -v[172:173]
	v_fma_f64 v[192:193], v[150:151], 2.0, -v[174:175]
	;; [unrolled: 1-line block ×4, first 2 shown]
	v_add_f64 v[148:149], v[172:173], v[178:179]
	v_add_f64 v[150:151], v[174:175], -v[176:177]
	v_fma_f64 v[170:171], v[152:153], 2.0, -v[180:181]
	v_fma_f64 v[194:195], v[154:155], 2.0, -v[182:183]
	;; [unrolled: 1-line block ×4, first 2 shown]
	v_add_f64 v[152:153], v[180:181], v[160:161]
	v_add_f64 v[156:157], v[190:191], -v[162:163]
	v_add_f64 v[158:159], v[192:193], -v[166:167]
	v_fma_f64 v[166:167], v[174:175], 2.0, -v[150:151]
	v_add_f64 v[160:161], v[170:171], -v[154:155]
	v_add_f64 v[162:163], v[194:195], -v[168:169]
	;; [unrolled: 1-line block ×3, first 2 shown]
	v_fma_f64 v[164:165], v[172:173], 2.0, -v[148:149]
	v_fma_f64 v[168:169], v[180:181], 2.0, -v[152:153]
	;; [unrolled: 1-line block ×7, first 2 shown]
	ds_write_b128 v205, v[148:151] offset:192
	ds_write_b128 v205, v[164:167] offset:64
	;; [unrolled: 1-line block ×3, first 2 shown]
	ds_write_b128 v205, v[172:175]
	ds_write_b128 v204, v[176:179]
	ds_write_b128 v204, v[168:171] offset:64
	ds_write_b128 v204, v[160:163] offset:128
	;; [unrolled: 1-line block ×3, first 2 shown]
	s_and_saveexec_b32 s1, s0
	s_cbranch_execz .LBB0_29
; %bb.28:
	v_mul_f64 v[148:149], v[46:47], v[144:145]
	v_mul_f64 v[150:151], v[50:51], v[98:99]
	;; [unrolled: 1-line block ×6, first 2 shown]
	v_fma_f64 v[146:147], v[44:45], v[146:147], -v[148:149]
	v_fma_f64 v[96:97], v[48:49], v[96:97], v[150:151]
	v_fma_f64 v[48:49], v[48:49], v[98:99], -v[50:51]
	v_fma_f64 v[50:51], v[40:41], v[142:143], -v[152:153]
	v_fma_f64 v[44:45], v[44:45], v[144:145], v[46:47]
	v_fma_f64 v[40:41], v[40:41], v[140:141], v[42:43]
	v_add_f64 v[98:99], v[70:71], -v[146:147]
	v_add_f64 v[46:47], v[48:49], -v[50:51]
	;; [unrolled: 1-line block ×4, first 2 shown]
	v_fma_f64 v[70:71], v[70:71], 2.0, -v[98:99]
	v_fma_f64 v[44:45], v[48:49], 2.0, -v[46:47]
	;; [unrolled: 1-line block ×4, first 2 shown]
	v_add_f64 v[42:43], v[98:99], -v[40:41]
	v_add_f64 v[40:41], v[140:141], v[46:47]
	v_and_or_b32 v96, 0xff0, v200, v189
	v_lshlrev_b32_e32 v96, 4, v96
	v_add_f64 v[46:47], v[70:71], -v[44:45]
	v_add_f64 v[44:45], v[68:69], -v[48:49]
	v_fma_f64 v[50:51], v[98:99], 2.0, -v[42:43]
	v_fma_f64 v[48:49], v[140:141], 2.0, -v[40:41]
	;; [unrolled: 1-line block ×4, first 2 shown]
	ds_write_b128 v96, v[48:51] offset:64
	ds_write_b128 v96, v[44:47] offset:128
	ds_write_b128 v96, v[68:71]
	ds_write_b128 v96, v[40:43] offset:192
.LBB0_29:
	s_or_b32 exec_lo, exec_lo, s1
	s_waitcnt lgkmcnt(0)
	s_barrier
	buffer_gl0_inv
	ds_read_b128 v[44:47], v185 offset:2816
	ds_read_b128 v[40:43], v185
	ds_read_b128 v[48:51], v185 offset:5632
	ds_read_b128 v[68:71], v185 offset:8448
	ds_read_b128 v[96:99], v185 offset:11264
	ds_read_b128 v[140:143], v185 offset:14080
	ds_read_b128 v[144:147], v185 offset:16896
	ds_read_b128 v[148:151], v185 offset:19712
	ds_read_b128 v[152:155], v185 offset:22528
	ds_read_b128 v[156:159], v185 offset:25344
	ds_read_b128 v[160:163], v185 offset:28160
	s_mov_b32 s2, 0xf8bb580b
	s_mov_b32 s3, 0xbfe14ced
	;; [unrolled: 1-line block ×9, first 2 shown]
	s_waitcnt lgkmcnt(10)
	v_mul_f64 v[164:165], v[82:83], v[46:47]
	v_mul_f64 v[82:83], v[82:83], v[44:45]
	s_waitcnt lgkmcnt(8)
	v_mul_f64 v[168:169], v[62:63], v[50:51]
	v_mul_f64 v[62:63], v[62:63], v[48:49]
	;; [unrolled: 3-line block ×3, first 2 shown]
	s_mov_b32 s16, 0xd9c712b6
	s_waitcnt lgkmcnt(3)
	v_mul_f64 v[174:175], v[74:75], v[150:151]
	s_waitcnt lgkmcnt(2)
	v_mul_f64 v[170:171], v[78:79], v[154:155]
	v_mul_f64 v[78:79], v[78:79], v[152:153]
	s_waitcnt lgkmcnt(0)
	v_mul_f64 v[166:167], v[90:91], v[160:161]
	v_mul_f64 v[74:75], v[74:75], v[148:149]
	s_mov_b32 s22, 0xbb3a28a1
	s_mov_b32 s26, 0x7f775887
	;; [unrolled: 1-line block ×10, first 2 shown]
	v_fma_f64 v[164:165], v[80:81], v[44:45], v[164:165]
	v_fma_f64 v[80:81], v[80:81], v[46:47], -v[82:83]
	v_mul_f64 v[46:47], v[90:91], v[162:163]
	v_mul_f64 v[82:83], v[94:95], v[158:159]
	;; [unrolled: 1-line block ×5, first 2 shown]
	v_fma_f64 v[48:49], v[60:61], v[48:49], v[168:169]
	v_fma_f64 v[50:51], v[60:61], v[50:51], -v[62:63]
	s_mov_b32 s1, 0x3fe14ced
	v_fma_f64 v[44:45], v[88:89], v[162:163], -v[166:167]
	v_mul_f64 v[162:163], v[86:87], v[142:143]
	v_mul_f64 v[86:87], v[86:87], v[140:141]
	;; [unrolled: 1-line block ×4, first 2 shown]
	s_mov_b32 s0, s2
	s_mov_b32 s25, 0x3fefac9e
	;; [unrolled: 1-line block ×7, first 2 shown]
	v_add_f64 v[60:61], v[40:41], v[164:165]
	v_add_f64 v[62:63], v[42:43], v[80:81]
	v_fma_f64 v[46:47], v[88:89], v[160:161], v[46:47]
	v_fma_f64 v[82:83], v[92:93], v[156:157], v[82:83]
	v_fma_f64 v[88:89], v[92:93], v[158:159], -v[90:91]
	v_fma_f64 v[68:69], v[56:57], v[68:69], v[94:95]
	v_fma_f64 v[56:57], v[56:57], v[70:71], -v[58:59]
	v_fma_f64 v[70:71], v[76:77], v[154:155], -v[78:79]
	v_fma_f64 v[58:59], v[76:77], v[152:153], v[170:171]
	v_fma_f64 v[76:77], v[52:53], v[96:97], v[172:173]
	v_fma_f64 v[52:53], v[52:53], v[98:99], -v[54:55]
	v_fma_f64 v[54:55], v[72:73], v[148:149], v[174:175]
	v_fma_f64 v[72:73], v[72:73], v[150:151], -v[74:75]
	v_add_f64 v[74:75], v[80:81], -v[44:45]
	v_add_f64 v[78:79], v[80:81], v[44:45]
	v_fma_f64 v[80:81], v[84:85], v[140:141], v[162:163]
	v_fma_f64 v[84:85], v[84:85], v[142:143], -v[86:87]
	v_fma_f64 v[86:87], v[64:65], v[144:145], v[166:167]
	v_fma_f64 v[64:65], v[64:65], v[146:147], -v[66:67]
	s_mov_b32 s14, s12
	s_mov_b32 s30, s22
	v_add_f64 v[60:61], v[60:61], v[48:49]
	v_add_f64 v[62:63], v[62:63], v[50:51]
	;; [unrolled: 1-line block ×3, first 2 shown]
	v_add_f64 v[90:91], v[164:165], -v[46:47]
	v_add_f64 v[94:95], v[50:51], -v[88:89]
	v_add_f64 v[50:51], v[50:51], v[88:89]
	v_add_f64 v[92:93], v[48:49], v[82:83]
	;; [unrolled: 1-line block ×3, first 2 shown]
	v_add_f64 v[142:143], v[56:57], -v[70:71]
	v_add_f64 v[96:97], v[68:69], v[58:59]
	v_add_f64 v[140:141], v[68:69], -v[58:59]
	v_add_f64 v[48:49], v[48:49], -v[82:83]
	v_add_f64 v[146:147], v[52:53], v[72:73]
	v_add_f64 v[148:149], v[52:53], -v[72:73]
	v_mul_f64 v[150:151], v[74:75], s[2:3]
	v_mul_f64 v[152:153], v[78:79], s[4:5]
	;; [unrolled: 1-line block ×6, first 2 shown]
	v_add_f64 v[144:145], v[76:77], v[54:55]
	s_barrier
	v_add_f64 v[60:61], v[60:61], v[68:69]
	v_add_f64 v[56:57], v[62:63], v[56:57]
	v_mul_f64 v[62:63], v[74:75], s[18:19]
	v_mul_f64 v[68:69], v[78:79], s[20:21]
	;; [unrolled: 1-line block ×12, first 2 shown]
	v_fma_f64 v[197:198], v[66:67], s[4:5], v[150:151]
	v_fma_f64 v[199:200], v[90:91], s[0:1], v[152:153]
	v_mul_f64 v[178:179], v[142:143], s[18:19]
	v_fma_f64 v[150:151], v[66:67], s[4:5], -v[150:151]
	v_fma_f64 v[152:153], v[90:91], s[2:3], v[152:153]
	v_fma_f64 v[201:202], v[66:67], s[16:17], v[154:155]
	;; [unrolled: 1-line block ×3, first 2 shown]
	v_fma_f64 v[154:155], v[66:67], s[16:17], -v[154:155]
	v_add_f64 v[60:61], v[60:61], v[76:77]
	v_add_f64 v[52:53], v[56:57], v[52:53]
	v_fma_f64 v[207:208], v[66:67], s[20:21], v[62:63]
	v_fma_f64 v[209:210], v[90:91], s[24:25], v[68:69]
	v_fma_f64 v[62:63], v[66:67], s[20:21], -v[62:63]
	v_fma_f64 v[68:69], v[90:91], s[18:19], v[68:69]
	v_fma_f64 v[156:157], v[90:91], s[12:13], v[156:157]
	;; [unrolled: 1-line block ×4, first 2 shown]
	v_fma_f64 v[158:159], v[66:67], s[26:27], -v[158:159]
	v_fma_f64 v[160:161], v[90:91], s[22:23], v[160:161]
	v_fma_f64 v[215:216], v[66:67], s[34:35], v[74:75]
	;; [unrolled: 1-line block ×3, first 2 shown]
	v_fma_f64 v[66:67], v[66:67], s[34:35], -v[74:75]
	v_fma_f64 v[74:75], v[90:91], s[28:29], v[78:79]
	v_fma_f64 v[78:79], v[92:93], s[16:17], v[162:163]
	v_add_f64 v[197:198], v[40:41], v[197:198]
	v_mul_f64 v[166:167], v[94:95], s[22:23]
	v_mul_f64 v[94:95], v[94:95], s[0:1]
	;; [unrolled: 1-line block ×3, first 2 shown]
	v_fma_f64 v[90:91], v[48:49], s[14:15], v[164:165]
	v_add_f64 v[199:200], v[42:43], v[199:200]
	v_add_f64 v[60:61], v[60:61], v[80:81]
	;; [unrolled: 1-line block ×3, first 2 shown]
	v_mul_f64 v[56:57], v[142:143], s[14:15]
	v_mul_f64 v[191:192], v[98:99], s[16:17]
	v_fma_f64 v[223:224], v[92:93], s[34:35], v[170:171]
	v_fma_f64 v[225:226], v[48:49], s[28:29], v[172:173]
	v_fma_f64 v[170:171], v[92:93], s[34:35], -v[170:171]
	v_fma_f64 v[172:173], v[48:49], s[36:37], v[172:173]
	v_add_f64 v[62:63], v[40:41], v[62:63]
	v_add_f64 v[68:69], v[42:43], v[68:69]
	v_mul_f64 v[193:194], v[142:143], s[2:3]
	v_fma_f64 v[162:163], v[92:93], s[16:17], -v[162:163]
	v_fma_f64 v[164:165], v[48:49], s[12:13], v[164:165]
	v_fma_f64 v[221:222], v[48:49], s[30:31], v[168:169]
	;; [unrolled: 1-line block ×9, first 2 shown]
	v_add_f64 v[154:155], v[40:41], v[154:155]
	v_add_f64 v[60:61], v[60:61], v[86:87]
	;; [unrolled: 1-line block ×6, first 2 shown]
	v_fma_f64 v[219:220], v[92:93], s[26:27], v[166:167]
	v_fma_f64 v[166:167], v[92:93], s[26:27], -v[166:167]
	v_fma_f64 v[174:175], v[92:93], s[20:21], -v[174:175]
	v_fma_f64 v[231:232], v[92:93], s[4:5], v[94:95]
	v_fma_f64 v[92:93], v[92:93], s[4:5], -v[94:95]
	v_fma_f64 v[94:95], v[140:141], s[24:25], v[180:181]
	v_mul_f64 v[182:183], v[142:143], s[36:37]
	v_mul_f64 v[189:190], v[98:99], s[34:35]
	;; [unrolled: 1-line block ×4, first 2 shown]
	v_fma_f64 v[239:240], v[96:97], s[16:17], v[56:57]
	v_fma_f64 v[241:242], v[140:141], s[12:13], v[191:192]
	v_fma_f64 v[56:57], v[96:97], s[16:17], -v[56:57]
	v_fma_f64 v[191:192], v[140:141], s[14:15], v[191:192]
	v_add_f64 v[62:63], v[170:171], v[62:63]
	v_add_f64 v[68:69], v[172:173], v[68:69]
	v_mul_f64 v[98:99], v[98:99], s[26:27]
	v_add_f64 v[60:61], v[60:61], v[54:55]
	v_add_f64 v[52:53], v[52:53], v[72:73]
	;; [unrolled: 1-line block ×16, first 2 shown]
	v_fma_f64 v[178:179], v[96:97], s[20:21], -v[178:179]
	v_add_f64 v[54:55], v[76:77], -v[54:55]
	v_fma_f64 v[76:77], v[96:97], s[4:5], v[193:194]
	v_fma_f64 v[180:181], v[140:141], s[18:19], v[180:181]
	;; [unrolled: 1-line block ×4, first 2 shown]
	v_add_f64 v[58:59], v[60:61], v[58:59]
	v_add_f64 v[52:53], v[52:53], v[70:71]
	;; [unrolled: 1-line block ×5, first 2 shown]
	v_fma_f64 v[182:183], v[96:97], s[34:35], -v[182:183]
	v_add_f64 v[72:73], v[219:220], v[152:153]
	v_add_f64 v[78:79], v[221:222], v[201:202]
	;; [unrolled: 1-line block ×5, first 2 shown]
	v_fma_f64 v[189:190], v[140:141], s[36:37], v[189:190]
	v_add_f64 v[40:41], v[92:93], v[40:41]
	v_add_f64 v[42:43], v[48:49], v[42:43]
	v_add_f64 v[48:49], v[50:51], v[66:67]
	v_mul_f64 v[66:67], v[148:149], s[22:23]
	v_add_f64 v[50:51], v[94:95], v[74:75]
	v_mul_f64 v[74:75], v[146:147], s[26:27]
	v_mul_f64 v[92:93], v[146:147], s[20:21]
	v_add_f64 v[158:159], v[174:175], v[158:159]
	v_add_f64 v[160:161], v[176:177], v[160:161]
	v_fma_f64 v[94:95], v[96:97], s[4:5], -v[193:194]
	v_add_f64 v[58:59], v[58:59], v[82:83]
	v_add_f64 v[52:53], v[52:53], v[88:89]
	v_fma_f64 v[82:83], v[140:141], s[0:1], v[195:196]
	v_mul_f64 v[88:89], v[148:149], s[24:25]
	v_fma_f64 v[168:169], v[140:141], s[2:3], v[195:196]
	v_add_f64 v[56:57], v[56:57], v[62:63]
	v_add_f64 v[62:63], v[191:192], v[68:69]
	v_fma_f64 v[68:69], v[96:97], s[26:27], -v[142:143]
	v_add_f64 v[152:153], v[223:224], v[203:204]
	v_fma_f64 v[170:171], v[96:97], s[26:27], v[142:143]
	v_mul_f64 v[142:143], v[148:149], s[2:3]
	v_add_f64 v[154:155], v[225:226], v[207:208]
	v_add_f64 v[60:61], v[178:179], v[60:61]
	v_fma_f64 v[172:173], v[140:141], s[30:31], v[98:99]
	v_fma_f64 v[96:97], v[140:141], s[22:23], v[98:99]
	;; [unrolled: 1-line block ×3, first 2 shown]
	v_add_f64 v[76:77], v[76:77], v[156:157]
	v_fma_f64 v[66:67], v[144:145], s[26:27], -v[66:67]
	v_mul_f64 v[156:157], v[146:147], s[4:5]
	v_add_f64 v[70:71], v[180:181], v[70:71]
	v_fma_f64 v[140:141], v[54:55], s[30:31], v[74:75]
	v_fma_f64 v[74:75], v[54:55], s[22:23], v[74:75]
	v_add_f64 v[72:73], v[235:236], v[72:73]
	v_add_f64 v[78:79], v[237:238], v[78:79]
	;; [unrolled: 1-line block ×4, first 2 shown]
	v_fma_f64 v[162:163], v[144:145], s[20:21], v[88:89]
	v_fma_f64 v[174:175], v[54:55], s[18:19], v[92:93]
	v_fma_f64 v[88:89], v[144:145], s[20:21], -v[88:89]
	v_add_f64 v[150:151], v[189:190], v[150:151]
	v_add_f64 v[94:95], v[94:95], v[158:159]
	v_fma_f64 v[92:93], v[54:55], s[24:25], v[92:93]
	v_add_f64 v[158:159], v[168:169], v[160:161]
	v_mul_f64 v[160:161], v[148:149], s[28:29]
	v_mul_f64 v[168:169], v[146:147], s[34:35]
	;; [unrolled: 1-line block ×4, first 2 shown]
	v_add_f64 v[40:41], v[68:69], v[40:41]
	v_add_f64 v[68:69], v[84:85], -v[64:65]
	v_add_f64 v[64:65], v[84:85], v[64:65]
	v_add_f64 v[164:165], v[231:232], v[213:214]
	;; [unrolled: 1-line block ×4, first 2 shown]
	v_fma_f64 v[84:85], v[144:145], s[4:5], v[142:143]
	v_add_f64 v[154:155], v[241:242], v[154:155]
	v_add_f64 v[60:61], v[66:67], v[60:61]
	v_fma_f64 v[66:67], v[54:55], s[0:1], v[156:157]
	v_add_f64 v[42:43], v[96:97], v[42:43]
	v_add_f64 v[96:97], v[74:75], v[70:71]
	v_fma_f64 v[74:75], v[144:145], s[4:5], -v[142:143]
	v_add_f64 v[70:71], v[162:163], v[72:73]
	v_add_f64 v[72:73], v[174:175], v[78:79]
	;; [unrolled: 1-line block ×3, first 2 shown]
	v_fma_f64 v[90:91], v[54:55], s[2:3], v[156:157]
	v_add_f64 v[48:49], v[98:99], v[48:49]
	v_add_f64 v[50:51], v[140:141], v[50:51]
	;; [unrolled: 1-line block ×3, first 2 shown]
	v_fma_f64 v[92:93], v[144:145], s[34:35], v[160:161]
	v_fma_f64 v[98:99], v[54:55], s[36:37], v[168:169]
	v_fma_f64 v[140:141], v[144:145], s[34:35], -v[160:161]
	v_fma_f64 v[142:143], v[54:55], s[28:29], v[168:169]
	v_fma_f64 v[150:151], v[144:145], s[16:17], v[148:149]
	;; [unrolled: 1-line block ×3, first 2 shown]
	v_fma_f64 v[144:145], v[144:145], s[16:17], -v[148:149]
	v_fma_f64 v[54:55], v[54:55], s[14:15], v[146:147]
	v_add_f64 v[146:147], v[80:81], v[86:87]
	v_add_f64 v[80:81], v[80:81], -v[86:87]
	v_mul_f64 v[86:87], v[68:69], s[28:29]
	v_mul_f64 v[148:149], v[64:65], s[34:35]
	v_add_f64 v[164:165], v[170:171], v[164:165]
	v_add_f64 v[166:167], v[172:173], v[166:167]
	;; [unrolled: 1-line block ×3, first 2 shown]
	v_mul_f64 v[152:153], v[68:69], s[0:1]
	v_mul_f64 v[160:161], v[64:65], s[4:5]
	v_add_f64 v[66:67], v[66:67], v[154:155]
	v_mul_f64 v[154:155], v[68:69], s[22:23]
	v_mul_f64 v[162:163], v[64:65], s[26:27]
	v_add_f64 v[74:75], v[74:75], v[56:57]
	;; [unrolled: 3-line block ×4, first 2 shown]
	v_add_f64 v[76:77], v[98:99], v[82:83]
	v_add_f64 v[82:83], v[140:141], v[94:95]
	;; [unrolled: 1-line block ×5, first 2 shown]
	v_fma_f64 v[54:55], v[146:147], s[34:35], v[86:87]
	v_fma_f64 v[144:145], v[80:81], s[36:37], v[148:149]
	v_add_f64 v[94:95], v[150:151], v[164:165]
	v_add_f64 v[98:99], v[156:157], v[166:167]
	v_fma_f64 v[86:87], v[146:147], s[34:35], -v[86:87]
	v_fma_f64 v[150:151], v[146:147], s[4:5], v[152:153]
	v_fma_f64 v[156:157], v[80:81], s[2:3], v[160:161]
	v_fma_f64 v[152:153], v[146:147], s[4:5], -v[152:153]
	v_fma_f64 v[158:159], v[146:147], s[26:27], v[154:155]
	v_fma_f64 v[164:165], v[80:81], s[30:31], v[162:163]
	;; [unrolled: 3-line block ×5, first 2 shown]
	v_fma_f64 v[162:163], v[80:81], s[22:23], v[162:163]
	v_fma_f64 v[160:161], v[80:81], s[0:1], v[160:161]
	;; [unrolled: 1-line block ×3, first 2 shown]
	v_add_f64 v[40:41], v[58:59], v[46:47]
	v_add_f64 v[42:43], v[52:53], v[44:45]
	;; [unrolled: 1-line block ×22, first 2 shown]
	buffer_gl0_inv
	ds_write_b128 v206, v[40:43]
	ds_write_b128 v206, v[44:47] offset:256
	ds_write_b128 v206, v[52:55] offset:512
	;; [unrolled: 1-line block ×10, first 2 shown]
	s_waitcnt lgkmcnt(0)
	s_barrier
	buffer_gl0_inv
	ds_read_b128 v[40:43], v185 offset:2816
	ds_read_b128 v[44:47], v185 offset:5632
	;; [unrolled: 1-line block ×3, first 2 shown]
	s_waitcnt lgkmcnt(2)
	v_mul_f64 v[52:53], v[126:127], v[42:43]
	v_mul_f64 v[56:57], v[126:127], v[40:41]
	s_waitcnt lgkmcnt(1)
	v_mul_f64 v[58:59], v[130:131], v[46:47]
	v_mul_f64 v[60:61], v[130:131], v[44:45]
	v_fma_f64 v[72:73], v[124:125], v[40:41], v[52:53]
	ds_read_b128 v[52:55], v185
	v_fma_f64 v[74:75], v[124:125], v[42:43], -v[56:57]
	v_fma_f64 v[76:77], v[128:129], v[44:45], v[58:59]
	s_waitcnt lgkmcnt(1)
	v_mul_f64 v[56:57], v[114:115], v[50:51]
	v_mul_f64 v[58:59], v[114:115], v[48:49]
	v_fma_f64 v[78:79], v[128:129], v[46:47], -v[60:61]
	ds_read_b128 v[40:43], v185 offset:11264
	ds_read_b128 v[44:47], v185 offset:14080
	s_waitcnt lgkmcnt(2)
	v_add_f64 v[60:61], v[52:53], v[72:73]
	v_add_f64 v[62:63], v[54:55], v[74:75]
	v_fma_f64 v[80:81], v[112:113], v[48:49], v[56:57]
	v_fma_f64 v[82:83], v[112:113], v[50:51], -v[58:59]
	s_waitcnt lgkmcnt(1)
	v_mul_f64 v[64:65], v[110:111], v[42:43]
	v_mul_f64 v[66:67], v[110:111], v[40:41]
	ds_read_b128 v[48:51], v185 offset:28160
	ds_read_b128 v[56:59], v185 offset:25344
	s_waitcnt lgkmcnt(2)
	v_mul_f64 v[84:85], v[122:123], v[46:47]
	v_mul_f64 v[86:87], v[122:123], v[44:45]
	v_add_f64 v[68:69], v[60:61], v[76:77]
	v_add_f64 v[70:71], v[62:63], v[78:79]
	ds_read_b128 v[60:63], v185 offset:16896
	s_waitcnt lgkmcnt(2)
	v_mul_f64 v[92:93], v[138:139], v[48:49]
	v_fma_f64 v[88:89], v[108:109], v[40:41], v[64:65]
	v_fma_f64 v[90:91], v[108:109], v[42:43], -v[66:67]
	s_waitcnt lgkmcnt(1)
	v_mul_f64 v[94:95], v[134:135], v[56:57]
	v_fma_f64 v[44:45], v[120:121], v[44:45], v[84:85]
	v_fma_f64 v[46:47], v[120:121], v[46:47], -v[86:87]
	v_mul_f64 v[84:85], v[138:139], v[50:51]
	v_add_f64 v[40:41], v[68:69], v[80:81]
	s_waitcnt lgkmcnt(0)
	v_mul_f64 v[96:97], v[118:119], v[62:63]
	v_add_f64 v[42:43], v[70:71], v[82:83]
	v_mul_f64 v[86:87], v[118:119], v[60:61]
	ds_read_b128 v[64:67], v185 offset:22528
	ds_read_b128 v[68:71], v185 offset:19712
	v_add_f64 v[98:99], v[40:41], v[88:89]
	v_fma_f64 v[40:41], v[136:137], v[50:51], -v[92:93]
	v_add_f64 v[108:109], v[42:43], v[90:91]
	v_mul_f64 v[50:51], v[134:135], v[58:59]
	s_waitcnt lgkmcnt(1)
	v_mul_f64 v[92:93], v[102:103], v[64:65]
	v_fma_f64 v[58:59], v[132:133], v[58:59], -v[94:95]
	v_fma_f64 v[60:61], v[116:117], v[60:61], v[96:97]
	s_waitcnt lgkmcnt(0)
	v_mul_f64 v[94:95], v[106:107], v[70:71]
	v_mul_f64 v[96:97], v[106:107], v[68:69]
	v_fma_f64 v[42:43], v[136:137], v[48:49], v[84:85]
	v_fma_f64 v[48:49], v[116:117], v[62:63], -v[86:87]
	v_add_f64 v[62:63], v[98:99], v[44:45]
	v_add_f64 v[86:87], v[74:75], -v[40:41]
	v_add_f64 v[84:85], v[108:109], v[46:47]
	v_add_f64 v[74:75], v[74:75], v[40:41]
	v_mul_f64 v[98:99], v[102:103], v[66:67]
	v_fma_f64 v[50:51], v[132:133], v[56:57], v[50:51]
	v_fma_f64 v[56:57], v[100:101], v[66:67], -v[92:93]
	v_add_f64 v[66:67], v[78:79], -v[58:59]
	v_add_f64 v[78:79], v[78:79], v[58:59]
	v_fma_f64 v[68:69], v[104:105], v[68:69], v[94:95]
	v_fma_f64 v[70:71], v[104:105], v[70:71], -v[96:97]
	v_add_f64 v[92:93], v[72:73], v[42:43]
	v_add_f64 v[72:73], v[72:73], -v[42:43]
	v_add_f64 v[62:63], v[62:63], v[60:61]
	v_mul_f64 v[94:95], v[86:87], s[2:3]
	v_add_f64 v[84:85], v[84:85], v[48:49]
	v_mul_f64 v[96:97], v[74:75], s[4:5]
	v_fma_f64 v[64:65], v[100:101], v[64:65], v[98:99]
	v_add_f64 v[98:99], v[76:77], v[50:51]
	v_mul_f64 v[100:101], v[86:87], s[12:13]
	v_mul_f64 v[102:103], v[74:75], s[16:17]
	v_add_f64 v[76:77], v[76:77], -v[50:51]
	v_mul_f64 v[106:107], v[86:87], s[18:19]
	v_mul_f64 v[108:109], v[74:75], s[20:21]
	;; [unrolled: 1-line block ×8, first 2 shown]
	v_add_f64 v[104:105], v[82:83], -v[56:57]
	v_mul_f64 v[118:119], v[66:67], s[22:23]
	v_mul_f64 v[120:121], v[78:79], s[26:27]
	;; [unrolled: 1-line block ×4, first 2 shown]
	v_add_f64 v[62:63], v[62:63], v[68:69]
	v_fma_f64 v[126:127], v[92:93], s[4:5], v[94:95]
	v_add_f64 v[84:85], v[84:85], v[70:71]
	v_fma_f64 v[128:129], v[72:73], s[0:1], v[96:97]
	v_fma_f64 v[94:95], v[92:93], s[4:5], -v[94:95]
	v_fma_f64 v[96:97], v[72:73], s[2:3], v[96:97]
	v_fma_f64 v[130:131], v[92:93], s[16:17], v[100:101]
	v_fma_f64 v[132:133], v[72:73], s[14:15], v[102:103]
	v_fma_f64 v[100:101], v[92:93], s[16:17], -v[100:101]
	v_fma_f64 v[102:103], v[72:73], s[12:13], v[102:103]
	v_fma_f64 v[134:135], v[92:93], s[20:21], v[106:107]
	;; [unrolled: 4-line block ×4, first 2 shown]
	v_fma_f64 v[144:145], v[72:73], s[36:37], v[74:75]
	v_fma_f64 v[86:87], v[92:93], s[34:35], -v[86:87]
	v_fma_f64 v[72:73], v[72:73], s[28:29], v[74:75]
	v_add_f64 v[62:63], v[62:63], v[64:65]
	v_fma_f64 v[92:93], v[76:77], s[14:15], v[116:117]
	v_add_f64 v[74:75], v[84:85], v[56:57]
	;; [unrolled: 2-line block ×3, first 2 shown]
	v_add_f64 v[128:129], v[54:55], v[128:129]
	v_add_f64 v[56:57], v[82:83], v[56:57]
	;; [unrolled: 1-line block ×20, first 2 shown]
	v_fma_f64 v[62:63], v[98:99], s[16:17], -v[114:115]
	v_fma_f64 v[74:75], v[76:77], s[12:13], v[116:117]
	v_mul_f64 v[82:83], v[66:67], s[24:25]
	v_mul_f64 v[114:115], v[78:79], s[20:21]
	v_add_f64 v[52:53], v[52:53], v[86:87]
	v_add_f64 v[54:55], v[54:55], v[72:73]
	v_mul_f64 v[66:67], v[66:67], s[0:1]
	v_mul_f64 v[72:73], v[78:79], s[4:5]
	v_fma_f64 v[78:79], v[98:99], s[26:27], v[118:119]
	v_fma_f64 v[86:87], v[76:77], s[30:31], v[120:121]
	v_fma_f64 v[116:117], v[98:99], s[26:27], -v[118:119]
	v_fma_f64 v[118:119], v[76:77], s[22:23], v[120:121]
	v_fma_f64 v[120:121], v[98:99], s[34:35], v[122:123]
	;; [unrolled: 1-line block ×3, first 2 shown]
	v_add_f64 v[84:85], v[84:85], v[126:127]
	v_add_f64 v[92:93], v[92:93], v[128:129]
	v_fma_f64 v[122:123], v[98:99], s[34:35], -v[122:123]
	v_add_f64 v[126:127], v[80:81], v[64:65]
	v_mul_f64 v[128:129], v[104:105], s[18:19]
	v_fma_f64 v[124:125], v[76:77], s[36:37], v[124:125]
	v_add_f64 v[64:65], v[80:81], -v[64:65]
	v_mul_f64 v[80:81], v[56:57], s[20:21]
	v_add_f64 v[62:63], v[62:63], v[94:95]
	v_add_f64 v[74:75], v[74:75], v[96:97]
	v_fma_f64 v[94:95], v[98:99], s[20:21], v[82:83]
	v_fma_f64 v[96:97], v[76:77], s[18:19], v[114:115]
	v_fma_f64 v[82:83], v[98:99], s[20:21], -v[82:83]
	v_fma_f64 v[114:115], v[76:77], s[24:25], v[114:115]
	v_fma_f64 v[148:149], v[98:99], s[4:5], v[66:67]
	v_fma_f64 v[150:151], v[76:77], s[2:3], v[72:73]
	v_add_f64 v[78:79], v[78:79], v[130:131]
	v_add_f64 v[86:87], v[86:87], v[132:133]
	;; [unrolled: 1-line block ×3, first 2 shown]
	v_mul_f64 v[130:131], v[56:57], s[34:35]
	v_add_f64 v[116:117], v[120:121], v[134:135]
	v_mul_f64 v[120:121], v[104:105], s[36:37]
	v_fma_f64 v[66:67], v[98:99], s[4:5], -v[66:67]
	v_fma_f64 v[72:73], v[76:77], s[0:1], v[72:73]
	v_add_f64 v[98:99], v[122:123], v[106:107]
	v_mul_f64 v[122:123], v[104:105], s[14:15]
	v_fma_f64 v[76:77], v[126:127], s[20:21], v[128:129]
	v_add_f64 v[106:107], v[124:125], v[108:109]
	v_mul_f64 v[124:125], v[56:57], s[16:17]
	v_fma_f64 v[108:109], v[64:65], s[24:25], v[80:81]
	v_add_f64 v[132:133], v[90:91], -v[70:71]
	v_add_f64 v[70:71], v[90:91], v[70:71]
	v_add_f64 v[102:103], v[118:119], v[102:103]
	;; [unrolled: 1-line block ×4, first 2 shown]
	v_mul_f64 v[90:91], v[104:105], s[2:3]
	v_mul_f64 v[134:135], v[56:57], s[4:5]
	v_fma_f64 v[128:129], v[126:127], s[20:21], -v[128:129]
	v_fma_f64 v[80:81], v[64:65], s[18:19], v[80:81]
	v_mul_f64 v[56:57], v[56:57], s[26:27]
	v_mul_f64 v[104:105], v[104:105], s[22:23]
	v_fma_f64 v[138:139], v[64:65], s[28:29], v[130:131]
	v_add_f64 v[96:97], v[96:97], v[140:141]
	v_fma_f64 v[136:137], v[126:127], s[34:35], v[120:121]
	v_add_f64 v[52:53], v[66:67], v[52:53]
	v_add_f64 v[54:55], v[72:73], v[54:55]
	v_fma_f64 v[72:73], v[126:127], s[34:35], -v[120:121]
	v_fma_f64 v[120:121], v[126:127], s[16:17], -v[122:123]
	v_add_f64 v[66:67], v[76:77], v[84:85]
	v_fma_f64 v[76:77], v[64:65], s[36:37], v[130:131]
	v_add_f64 v[82:83], v[82:83], v[110:111]
	v_add_f64 v[84:85], v[108:109], v[92:93]
	v_fma_f64 v[92:93], v[126:127], s[16:17], v[122:123]
	v_fma_f64 v[108:109], v[64:65], s[12:13], v[124:125]
	;; [unrolled: 1-line block ×3, first 2 shown]
	v_add_f64 v[124:125], v[88:89], v[68:69]
	v_add_f64 v[68:69], v[88:89], -v[68:69]
	v_mul_f64 v[88:89], v[132:133], s[22:23]
	v_mul_f64 v[130:131], v[70:71], s[26:27]
	v_add_f64 v[110:111], v[114:115], v[112:113]
	v_add_f64 v[112:113], v[148:149], v[142:143]
	v_fma_f64 v[140:141], v[126:127], s[4:5], v[90:91]
	v_fma_f64 v[142:143], v[64:65], s[0:1], v[134:135]
	v_add_f64 v[62:63], v[128:129], v[62:63]
	v_add_f64 v[74:75], v[80:81], v[74:75]
	v_add_f64 v[80:81], v[138:139], v[86:87]
	v_mul_f64 v[86:87], v[132:133], s[24:25]
	v_mul_f64 v[128:129], v[70:71], s[20:21]
	v_fma_f64 v[90:91], v[126:127], s[4:5], -v[90:91]
	v_add_f64 v[72:73], v[72:73], v[100:101]
	v_fma_f64 v[100:101], v[64:65], s[2:3], v[134:135]
	v_add_f64 v[114:115], v[150:151], v[144:145]
	v_add_f64 v[76:77], v[76:77], v[102:103]
	v_add_f64 v[98:99], v[120:121], v[98:99]
	v_add_f64 v[92:93], v[92:93], v[116:117]
	v_fma_f64 v[116:117], v[64:65], s[30:31], v[56:57]
	v_fma_f64 v[56:57], v[64:65], s[22:23], v[56:57]
	v_add_f64 v[102:103], v[108:109], v[118:119]
	v_fma_f64 v[108:109], v[126:127], s[26:27], v[104:105]
	v_fma_f64 v[64:65], v[124:125], s[26:27], v[88:89]
	v_mul_f64 v[120:121], v[132:133], s[2:3]
	v_add_f64 v[106:107], v[122:123], v[106:107]
	v_fma_f64 v[104:105], v[126:127], s[26:27], -v[104:105]
	v_fma_f64 v[88:89], v[124:125], s[26:27], -v[88:89]
	v_fma_f64 v[122:123], v[68:69], s[22:23], v[130:131]
	v_mul_f64 v[126:127], v[70:71], s[4:5]
	v_fma_f64 v[118:119], v[68:69], s[30:31], v[130:131]
	v_add_f64 v[94:95], v[140:141], v[94:95]
	v_fma_f64 v[130:131], v[124:125], s[20:21], v[86:87]
	v_fma_f64 v[134:135], v[68:69], s[18:19], v[128:129]
	v_add_f64 v[82:83], v[90:91], v[82:83]
	v_fma_f64 v[86:87], v[124:125], s[20:21], -v[86:87]
	v_fma_f64 v[90:91], v[68:69], s[24:25], v[128:129]
	v_add_f64 v[100:101], v[100:101], v[110:111]
	v_mul_f64 v[110:111], v[132:133], s[28:29]
	v_mul_f64 v[128:129], v[70:71], s[34:35]
	;; [unrolled: 1-line block ×3, first 2 shown]
	v_add_f64 v[96:97], v[142:143], v[96:97]
	v_add_f64 v[54:55], v[56:57], v[54:55]
	;; [unrolled: 1-line block ×5, first 2 shown]
	v_add_f64 v[66:67], v[46:47], -v[48:49]
	v_add_f64 v[46:47], v[46:47], v[48:49]
	v_add_f64 v[112:113], v[116:117], v[114:115]
	v_mul_f64 v[114:115], v[132:133], s[14:15]
	v_fma_f64 v[48:49], v[124:125], s[4:5], v[120:121]
	v_add_f64 v[62:63], v[88:89], v[62:63]
	v_add_f64 v[88:89], v[122:123], v[74:75]
	v_fma_f64 v[74:75], v[68:69], s[0:1], v[126:127]
	v_add_f64 v[64:65], v[118:119], v[84:85]
	v_fma_f64 v[84:85], v[124:125], s[4:5], -v[120:121]
	v_add_f64 v[52:53], v[104:105], v[52:53]
	v_add_f64 v[72:73], v[86:87], v[72:73]
	;; [unrolled: 1-line block ×3, first 2 shown]
	v_fma_f64 v[76:77], v[68:69], s[2:3], v[126:127]
	v_fma_f64 v[90:91], v[124:125], s[34:35], v[110:111]
	v_fma_f64 v[104:105], v[68:69], s[36:37], v[128:129]
	v_fma_f64 v[116:117], v[68:69], s[28:29], v[128:129]
	v_fma_f64 v[120:121], v[68:69], s[12:13], v[70:71]
	v_fma_f64 v[68:69], v[68:69], s[14:15], v[70:71]
	v_add_f64 v[70:71], v[44:45], v[60:61]
	v_add_f64 v[44:45], v[44:45], -v[60:61]
	v_fma_f64 v[110:111], v[124:125], s[34:35], -v[110:111]
	v_mul_f64 v[60:61], v[66:67], s[28:29]
	v_mul_f64 v[122:123], v[46:47], s[34:35]
	;; [unrolled: 1-line block ×3, first 2 shown]
	v_fma_f64 v[118:119], v[124:125], s[16:17], v[114:115]
	v_fma_f64 v[114:115], v[124:125], s[16:17], -v[114:115]
	v_add_f64 v[92:93], v[48:49], v[92:93]
	v_mul_f64 v[48:49], v[66:67], s[0:1]
	v_mul_f64 v[124:125], v[46:47], s[4:5]
	v_add_f64 v[74:75], v[74:75], v[102:103]
	v_mul_f64 v[102:103], v[66:67], s[22:23]
	v_add_f64 v[84:85], v[84:85], v[98:99]
	v_mul_f64 v[98:99], v[66:67], s[14:15]
	v_mul_f64 v[128:129], v[46:47], s[16:17]
	;; [unrolled: 1-line block ×4, first 2 shown]
	v_add_f64 v[106:107], v[76:77], v[106:107]
	v_add_f64 v[76:77], v[90:91], v[94:95]
	;; [unrolled: 1-line block ×7, first 2 shown]
	v_fma_f64 v[54:55], v[70:71], s[34:35], v[60:61]
	v_fma_f64 v[104:105], v[44:45], s[36:37], v[122:123]
	v_add_f64 v[94:95], v[116:117], v[100:101]
	v_add_f64 v[96:97], v[118:119], v[108:109]
	v_add_f64 v[52:53], v[114:115], v[52:53]
	v_fma_f64 v[60:61], v[70:71], s[34:35], -v[60:61]
	v_fma_f64 v[108:109], v[70:71], s[4:5], v[48:49]
	v_fma_f64 v[110:111], v[44:45], s[2:3], v[124:125]
	v_fma_f64 v[116:117], v[44:45], s[30:31], v[126:127]
	v_fma_f64 v[114:115], v[70:71], s[26:27], v[102:103]
	v_add_f64 v[100:101], v[120:121], v[112:113]
	v_fma_f64 v[112:113], v[70:71], s[4:5], -v[48:49]
	v_fma_f64 v[118:119], v[70:71], s[16:17], v[98:99]
	v_fma_f64 v[120:121], v[44:45], s[12:13], v[128:129]
	;; [unrolled: 1-line block ×4, first 2 shown]
	v_fma_f64 v[102:103], v[70:71], s[26:27], -v[102:103]
	v_fma_f64 v[98:99], v[70:71], s[16:17], -v[98:99]
	;; [unrolled: 1-line block ×3, first 2 shown]
	v_fma_f64 v[136:137], v[44:45], s[18:19], v[46:47]
	v_fma_f64 v[128:129], v[44:45], s[14:15], v[128:129]
	v_fma_f64 v[126:127], v[44:45], s[22:23], v[126:127]
	v_fma_f64 v[124:125], v[44:45], s[0:1], v[124:125]
	v_fma_f64 v[122:123], v[44:45], s[28:29], v[122:123]
	v_add_f64 v[42:43], v[50:51], v[42:43]
	v_add_f64 v[44:45], v[58:59], v[40:41]
	;; [unrolled: 1-line block ×22, first 2 shown]
	ds_write_b128 v185, v[42:45]
	ds_write_b128 v185, v[46:49] offset:2816
	ds_write_b128 v185, v[54:57] offset:5632
	;; [unrolled: 1-line block ×10, first 2 shown]
	s_waitcnt lgkmcnt(0)
	s_barrier
	buffer_gl0_inv
	ds_read_b128 v[40:43], v185
	ds_read_b128 v[44:47], v185 offset:15488
	ds_read_b128 v[48:51], v185 offset:2816
	v_mad_u64_u32 v[60:61], null, s10, v184, 0
	s_mov_b32 s2, 0x6be69c90
	s_mov_b32 s3, 0x3f40ecf5
	ds_read_b128 v[52:55], v185 offset:11264
	s_mul_i32 s1, s9, 0x3c8
	s_mul_hi_u32 s4, s8, 0x3c8
	s_add_i32 s1, s4, s1
	s_waitcnt lgkmcnt(3)
	v_mul_f64 v[56:57], v[2:3], v[42:43]
	v_mul_f64 v[2:3], v[2:3], v[40:41]
	s_waitcnt lgkmcnt(2)
	v_mul_f64 v[58:59], v[26:27], v[46:47]
	v_mul_f64 v[26:27], v[26:27], v[44:45]
	v_fma_f64 v[40:41], v[0:1], v[40:41], v[56:57]
	v_fma_f64 v[2:3], v[0:1], v[42:43], -v[2:3]
	v_mad_u64_u32 v[42:43], null, s8, v188, 0
	v_mad_u64_u32 v[0:1], null, s11, v184, v[61:62]
	v_fma_f64 v[44:45], v[24:25], v[44:45], v[58:59]
	v_fma_f64 v[46:47], v[24:25], v[46:47], -v[26:27]
	s_waitcnt lgkmcnt(1)
	v_mul_f64 v[56:57], v[22:23], v[50:51]
	v_mul_f64 v[22:23], v[22:23], v[48:49]
	v_mov_b32_e32 v1, v43
	v_mov_b32_e32 v61, v0
	v_lshlrev_b64 v[58:59], 4, v[60:61]
	v_mad_u64_u32 v[24:25], null, s9, v188, v[1:2]
	v_add_co_u32 v60, s0, s6, v58
	v_add_co_ci_u32_e64 v61, s0, s7, v59, s0
	v_mul_f64 v[0:1], v[40:41], s[2:3]
	v_mul_f64 v[2:3], v[2:3], s[2:3]
	v_mov_b32_e32 v43, v24
	ds_read_b128 v[24:27], v185 offset:18304
	v_fma_f64 v[48:49], v[20:21], v[48:49], v[56:57]
	v_mul_f64 v[40:41], v[44:45], s[2:3]
	v_lshlrev_b64 v[58:59], 4, v[42:43]
	v_mul_f64 v[42:43], v[46:47], s[2:3]
	ds_read_b128 v[44:47], v185 offset:5632
	v_add_co_u32 v72, s0, v60, v58
	v_add_co_ci_u32_e64 v73, s0, v61, v59, s0
	ds_read_b128 v[56:59], v185 offset:21120
	ds_read_b128 v[60:63], v185 offset:8448
	;; [unrolled: 1-line block ×4, first 2 shown]
	s_mul_i32 s0, s8, 0x3c8
	s_lshl_b64 s[4:5], s[0:1], 4
	s_waitcnt lgkmcnt(5)
	v_mul_f64 v[74:75], v[14:15], v[26:27]
	v_mul_f64 v[14:15], v[14:15], v[24:25]
	v_add_co_u32 v76, s0, v72, s4
	v_add_co_ci_u32_e64 v77, s0, s5, v73, s0
	global_store_dwordx4 v[72:73], v[0:3], off
	v_fma_f64 v[2:3], v[20:21], v[50:51], -v[22:23]
	s_waitcnt lgkmcnt(4)
	v_mul_f64 v[20:21], v[18:19], v[46:47]
	v_mul_f64 v[18:19], v[18:19], v[44:45]
	global_store_dwordx4 v[76:77], v[40:43], off
	v_mul_f64 v[42:43], v[34:35], v[54:55]
	v_mul_f64 v[34:35], v[34:35], v[52:53]
	;; [unrolled: 1-line block ×3, first 2 shown]
	s_waitcnt lgkmcnt(3)
	v_mul_f64 v[22:23], v[10:11], v[58:59]
	v_mul_f64 v[10:11], v[10:11], v[56:57]
	s_waitcnt lgkmcnt(1)
	v_mul_f64 v[40:41], v[30:31], v[66:67]
	v_mul_f64 v[30:31], v[30:31], v[64:65]
	;; [unrolled: 3-line block ×3, first 2 shown]
	s_mul_hi_u32 s0, s8, 0xfffffce8
	s_mul_i32 s1, s9, 0xfffffce8
	v_fma_f64 v[24:25], v[12:13], v[24:25], v[74:75]
	v_fma_f64 v[12:13], v[12:13], v[26:27], -v[14:15]
	v_mul_f64 v[14:15], v[6:7], v[62:63]
	v_mul_f64 v[26:27], v[6:7], v[60:61]
	s_sub_i32 s0, s0, s8
	s_add_i32 s1, s0, s1
	s_mul_i32 s0, s8, 0xfffffce8
	v_fma_f64 v[20:21], v[16:17], v[44:45], v[20:21]
	s_lshl_b64 s[6:7], s[0:1], 4
	v_fma_f64 v[16:17], v[16:17], v[46:47], -v[18:19]
	v_add_co_u32 v44, s0, v76, s6
	v_add_co_ci_u32_e64 v45, s0, s7, v77, s0
	v_fma_f64 v[18:19], v[8:9], v[56:57], v[22:23]
	v_fma_f64 v[22:23], v[8:9], v[58:59], -v[10:11]
	v_mul_f64 v[2:3], v[2:3], s[2:3]
	v_mul_f64 v[6:7], v[24:25], s[2:3]
	;; [unrolled: 1-line block ×3, first 2 shown]
	v_fma_f64 v[24:25], v[4:5], v[60:61], v[14:15]
	v_fma_f64 v[4:5], v[4:5], v[62:63], -v[26:27]
	v_fma_f64 v[26:27], v[28:29], v[64:65], v[40:41]
	v_fma_f64 v[28:29], v[28:29], v[66:67], -v[30:31]
	;; [unrolled: 2-line block ×4, first 2 shown]
	v_add_co_u32 v38, s0, v44, s4
	v_add_co_ci_u32_e64 v39, s0, s5, v45, s0
	v_mul_f64 v[10:11], v[20:21], s[2:3]
	v_add_co_u32 v40, s0, v38, s6
	v_add_co_ci_u32_e64 v41, s0, s7, v39, s0
	v_mul_f64 v[12:13], v[16:17], s[2:3]
	;; [unrolled: 3-line block ×3, first 2 shown]
	v_mul_f64 v[16:17], v[22:23], s[2:3]
	v_mul_f64 v[20:21], v[4:5], s[2:3]
	v_add_co_u32 v4, s0, v42, s6
	v_mul_f64 v[18:19], v[24:25], s[2:3]
	v_mul_f64 v[22:23], v[26:27], s[2:3]
	;; [unrolled: 1-line block ×3, first 2 shown]
	v_add_co_ci_u32_e64 v5, s0, s7, v43, s0
	v_mul_f64 v[26:27], v[30:31], s[2:3]
	v_mul_f64 v[28:29], v[32:33], s[2:3]
	;; [unrolled: 1-line block ×4, first 2 shown]
	global_store_dwordx4 v[44:45], v[0:3], off
	v_add_co_u32 v2, s0, v4, s4
	v_add_co_ci_u32_e64 v3, s0, s5, v5, s0
	global_store_dwordx4 v[38:39], v[6:9], off
	v_add_co_u32 v6, s0, v2, s6
	v_add_co_ci_u32_e64 v7, s0, s7, v3, s0
	;; [unrolled: 3-line block ×3, first 2 shown]
	global_store_dwordx4 v[42:43], v[14:17], off
	global_store_dwordx4 v[4:5], v[18:21], off
	;; [unrolled: 1-line block ×5, first 2 shown]
	s_and_b32 exec_lo, exec_lo, vcc_lo
	s_cbranch_execz .LBB0_31
; %bb.30:
	v_add_co_u32 v2, vcc_lo, 0x3000, v186
	v_add_co_ci_u32_e32 v3, vcc_lo, 0, v187, vcc_lo
	v_add_co_u32 v6, vcc_lo, 0x7000, v186
	v_add_co_ci_u32_e32 v7, vcc_lo, 0, v187, vcc_lo
	v_add_co_u32 v0, vcc_lo, v0, s6
	s_clause 0x1
	global_load_dwordx4 v[2:5], v[2:3], off offset:1792
	global_load_dwordx4 v[6:9], v[6:7], off offset:896
	ds_read_b128 v[10:13], v185 offset:14080
	ds_read_b128 v[14:17], v185 offset:29568
	v_add_co_ci_u32_e32 v1, vcc_lo, s7, v1, vcc_lo
	s_waitcnt vmcnt(1) lgkmcnt(1)
	v_mul_f64 v[18:19], v[12:13], v[4:5]
	v_mul_f64 v[4:5], v[10:11], v[4:5]
	s_waitcnt vmcnt(0) lgkmcnt(0)
	v_mul_f64 v[20:21], v[16:17], v[8:9]
	v_mul_f64 v[8:9], v[14:15], v[8:9]
	v_fma_f64 v[10:11], v[10:11], v[2:3], v[18:19]
	v_fma_f64 v[4:5], v[2:3], v[12:13], -v[4:5]
	v_fma_f64 v[12:13], v[14:15], v[6:7], v[20:21]
	v_fma_f64 v[8:9], v[6:7], v[16:17], -v[8:9]
	v_mul_f64 v[2:3], v[10:11], s[2:3]
	v_mul_f64 v[4:5], v[4:5], s[2:3]
	;; [unrolled: 1-line block ×4, first 2 shown]
	v_add_co_u32 v10, vcc_lo, v0, s4
	v_add_co_ci_u32_e32 v11, vcc_lo, s5, v1, vcc_lo
	global_store_dwordx4 v[0:1], v[2:5], off
	global_store_dwordx4 v[10:11], v[6:9], off
.LBB0_31:
	s_endpgm
	.section	.rodata,"a",@progbits
	.p2align	6, 0x0
	.amdhsa_kernel bluestein_single_back_len1936_dim1_dp_op_CI_CI
		.amdhsa_group_segment_fixed_size 30976
		.amdhsa_private_segment_fixed_size 0
		.amdhsa_kernarg_size 104
		.amdhsa_user_sgpr_count 6
		.amdhsa_user_sgpr_private_segment_buffer 1
		.amdhsa_user_sgpr_dispatch_ptr 0
		.amdhsa_user_sgpr_queue_ptr 0
		.amdhsa_user_sgpr_kernarg_segment_ptr 1
		.amdhsa_user_sgpr_dispatch_id 0
		.amdhsa_user_sgpr_flat_scratch_init 0
		.amdhsa_user_sgpr_private_segment_size 0
		.amdhsa_wavefront_size32 1
		.amdhsa_uses_dynamic_stack 0
		.amdhsa_system_sgpr_private_segment_wavefront_offset 0
		.amdhsa_system_sgpr_workgroup_id_x 1
		.amdhsa_system_sgpr_workgroup_id_y 0
		.amdhsa_system_sgpr_workgroup_id_z 0
		.amdhsa_system_sgpr_workgroup_info 0
		.amdhsa_system_vgpr_workitem_id 0
		.amdhsa_next_free_vgpr 247
		.amdhsa_next_free_sgpr 40
		.amdhsa_reserve_vcc 1
		.amdhsa_reserve_flat_scratch 0
		.amdhsa_float_round_mode_32 0
		.amdhsa_float_round_mode_16_64 0
		.amdhsa_float_denorm_mode_32 3
		.amdhsa_float_denorm_mode_16_64 3
		.amdhsa_dx10_clamp 1
		.amdhsa_ieee_mode 1
		.amdhsa_fp16_overflow 0
		.amdhsa_workgroup_processor_mode 1
		.amdhsa_memory_ordered 1
		.amdhsa_forward_progress 0
		.amdhsa_shared_vgpr_count 0
		.amdhsa_exception_fp_ieee_invalid_op 0
		.amdhsa_exception_fp_denorm_src 0
		.amdhsa_exception_fp_ieee_div_zero 0
		.amdhsa_exception_fp_ieee_overflow 0
		.amdhsa_exception_fp_ieee_underflow 0
		.amdhsa_exception_fp_ieee_inexact 0
		.amdhsa_exception_int_div_zero 0
	.end_amdhsa_kernel
	.text
.Lfunc_end0:
	.size	bluestein_single_back_len1936_dim1_dp_op_CI_CI, .Lfunc_end0-bluestein_single_back_len1936_dim1_dp_op_CI_CI
                                        ; -- End function
	.section	.AMDGPU.csdata,"",@progbits
; Kernel info:
; codeLenInByte = 20252
; NumSgprs: 42
; NumVgprs: 247
; ScratchSize: 0
; MemoryBound: 0
; FloatMode: 240
; IeeeMode: 1
; LDSByteSize: 30976 bytes/workgroup (compile time only)
; SGPRBlocks: 5
; VGPRBlocks: 30
; NumSGPRsForWavesPerEU: 42
; NumVGPRsForWavesPerEU: 247
; Occupancy: 4
; WaveLimiterHint : 1
; COMPUTE_PGM_RSRC2:SCRATCH_EN: 0
; COMPUTE_PGM_RSRC2:USER_SGPR: 6
; COMPUTE_PGM_RSRC2:TRAP_HANDLER: 0
; COMPUTE_PGM_RSRC2:TGID_X_EN: 1
; COMPUTE_PGM_RSRC2:TGID_Y_EN: 0
; COMPUTE_PGM_RSRC2:TGID_Z_EN: 0
; COMPUTE_PGM_RSRC2:TIDIG_COMP_CNT: 0
	.text
	.p2alignl 6, 3214868480
	.fill 48, 4, 3214868480
	.type	__hip_cuid_dddd489bcf52c33c,@object ; @__hip_cuid_dddd489bcf52c33c
	.section	.bss,"aw",@nobits
	.globl	__hip_cuid_dddd489bcf52c33c
__hip_cuid_dddd489bcf52c33c:
	.byte	0                               ; 0x0
	.size	__hip_cuid_dddd489bcf52c33c, 1

	.ident	"AMD clang version 19.0.0git (https://github.com/RadeonOpenCompute/llvm-project roc-6.4.0 25133 c7fe45cf4b819c5991fe208aaa96edf142730f1d)"
	.section	".note.GNU-stack","",@progbits
	.addrsig
	.addrsig_sym __hip_cuid_dddd489bcf52c33c
	.amdgpu_metadata
---
amdhsa.kernels:
  - .args:
      - .actual_access:  read_only
        .address_space:  global
        .offset:         0
        .size:           8
        .value_kind:     global_buffer
      - .actual_access:  read_only
        .address_space:  global
        .offset:         8
        .size:           8
        .value_kind:     global_buffer
      - .actual_access:  read_only
        .address_space:  global
        .offset:         16
        .size:           8
        .value_kind:     global_buffer
      - .actual_access:  read_only
        .address_space:  global
        .offset:         24
        .size:           8
        .value_kind:     global_buffer
      - .actual_access:  read_only
        .address_space:  global
        .offset:         32
        .size:           8
        .value_kind:     global_buffer
      - .offset:         40
        .size:           8
        .value_kind:     by_value
      - .address_space:  global
        .offset:         48
        .size:           8
        .value_kind:     global_buffer
      - .address_space:  global
        .offset:         56
        .size:           8
        .value_kind:     global_buffer
      - .address_space:  global
        .offset:         64
        .size:           8
        .value_kind:     global_buffer
      - .address_space:  global
        .offset:         72
        .size:           8
        .value_kind:     global_buffer
      - .offset:         80
        .size:           4
        .value_kind:     by_value
      - .address_space:  global
        .offset:         88
        .size:           8
        .value_kind:     global_buffer
      - .address_space:  global
        .offset:         96
        .size:           8
        .value_kind:     global_buffer
    .group_segment_fixed_size: 30976
    .kernarg_segment_align: 8
    .kernarg_segment_size: 104
    .language:       OpenCL C
    .language_version:
      - 2
      - 0
    .max_flat_workgroup_size: 176
    .name:           bluestein_single_back_len1936_dim1_dp_op_CI_CI
    .private_segment_fixed_size: 0
    .sgpr_count:     42
    .sgpr_spill_count: 0
    .symbol:         bluestein_single_back_len1936_dim1_dp_op_CI_CI.kd
    .uniform_work_group_size: 1
    .uses_dynamic_stack: false
    .vgpr_count:     247
    .vgpr_spill_count: 0
    .wavefront_size: 32
    .workgroup_processor_mode: 1
amdhsa.target:   amdgcn-amd-amdhsa--gfx1030
amdhsa.version:
  - 1
  - 2
...

	.end_amdgpu_metadata
